;; amdgpu-corpus repo=ROCm/rocFFT kind=compiled arch=gfx1030 opt=O3
	.text
	.amdgcn_target "amdgcn-amd-amdhsa--gfx1030"
	.amdhsa_code_object_version 6
	.protected	bluestein_single_back_len1575_dim1_half_op_CI_CI ; -- Begin function bluestein_single_back_len1575_dim1_half_op_CI_CI
	.globl	bluestein_single_back_len1575_dim1_half_op_CI_CI
	.p2align	8
	.type	bluestein_single_back_len1575_dim1_half_op_CI_CI,@function
bluestein_single_back_len1575_dim1_half_op_CI_CI: ; @bluestein_single_back_len1575_dim1_half_op_CI_CI
; %bb.0:
	s_load_dwordx4 s[8:11], s[4:5], 0x28
	v_mul_u32_u24_e32 v1, 0x411, v0
	v_mov_b32_e32 v61, 0
	s_mov_b32 s0, exec_lo
	v_lshrrev_b32_e32 v1, 16, v1
	v_add_nc_u32_e32 v60, s6, v1
	s_waitcnt lgkmcnt(0)
	v_cmpx_gt_u64_e64 s[8:9], v[60:61]
	s_cbranch_execz .LBB0_31
; %bb.1:
	s_clause 0x1
	s_load_dwordx4 s[0:3], s[4:5], 0x18
	s_load_dwordx2 s[6:7], s[4:5], 0x0
	v_mul_lo_u16 v1, v1, 63
	v_sub_nc_u16 v2, v0, v1
	v_and_b32_e32 v135, 0xffff, v2
	v_lshlrev_b32_e32 v113, 2, v135
	s_waitcnt lgkmcnt(0)
	s_load_dwordx4 s[12:15], s[0:1], 0x0
	v_add_co_u32 v58, s0, s6, v113
	v_add_co_ci_u32_e64 v59, null, s7, 0, s0
	global_load_dword v138, v113, s[6:7]
	v_add_nc_u32_e32 v33, 0x1200, v113
	v_add_nc_u32_e32 v24, 0xc00, v113
	s_waitcnt lgkmcnt(0)
	v_mad_u64_u32 v[0:1], null, s14, v60, 0
	v_mad_u64_u32 v[3:4], null, s12, v135, 0
	s_mul_i32 s1, s13, 0x20d
	s_mul_hi_u32 s9, s12, 0x20d
	s_mul_i32 s0, s12, 0x20d
	s_mul_i32 s14, s13, 0xfffffc25
	v_mad_u64_u32 v[5:6], null, s15, v60, v[1:2]
	v_add_co_u32 v6, vcc_lo, 0x800, v58
	v_add_co_ci_u32_e32 v7, vcc_lo, 0, v59, vcc_lo
	v_add_co_u32 v56, vcc_lo, 0x1000, v58
	v_mad_u64_u32 v[8:9], null, s13, v135, v[4:5]
	v_mov_b32_e32 v1, v5
	v_add_co_ci_u32_e32 v57, vcc_lo, 0, v59, vcc_lo
	s_mul_hi_u32 s13, s12, 0xfffffc25
	s_add_i32 s1, s9, s1
	v_lshlrev_b64 v[0:1], 2, v[0:1]
	v_mov_b32_e32 v4, v8
	s_mul_i32 s8, s12, 0xfffffc25
	s_sub_i32 s9, s13, s12
	s_lshl_b64 s[12:13], s[0:1], 2
	s_add_i32 s9, s9, s14
	v_lshlrev_b64 v[3:4], 2, v[3:4]
	v_add_co_u32 v0, vcc_lo, s10, v0
	v_add_co_ci_u32_e32 v1, vcc_lo, s11, v1, vcc_lo
	s_lshl_b64 s[0:1], s[8:9], 2
	v_add_co_u32 v0, vcc_lo, v0, v3
	v_add_co_ci_u32_e32 v1, vcc_lo, v1, v4, vcc_lo
	global_load_dword v137, v[6:7], off offset:52
	v_add_nc_u32_e32 v5, 0x200, v113
	global_load_dword v10, v[0:1], off
	v_add_co_u32 v0, vcc_lo, v0, s12
	v_add_co_ci_u32_e32 v1, vcc_lo, s13, v1, vcc_lo
	v_add_co_u32 v3, vcc_lo, v0, s12
	v_add_co_ci_u32_e32 v4, vcc_lo, s13, v1, vcc_lo
	global_load_dword v11, v[0:1], off
	v_add_co_u32 v0, vcc_lo, v3, s0
	v_add_co_ci_u32_e32 v1, vcc_lo, s1, v4, vcc_lo
	global_load_dword v12, v[3:4], off
	s_clause 0x1
	global_load_dword v134, v113, s[6:7] offset:252
	global_load_dword v136, v[56:57], off offset:104
	global_load_dword v13, v[0:1], off
	v_add_co_u32 v0, vcc_lo, v0, s12
	v_add_co_ci_u32_e32 v1, vcc_lo, s13, v1, vcc_lo
	v_add_co_u32 v3, vcc_lo, v0, s12
	v_add_co_ci_u32_e32 v4, vcc_lo, s13, v1, vcc_lo
	global_load_dword v14, v[0:1], off
	s_clause 0x2
	global_load_dword v133, v[6:7], off offset:304
	global_load_dword v131, v113, s[6:7] offset:504
	global_load_dword v132, v[56:57], off offset:356
	global_load_dword v15, v[3:4], off
	v_add_co_u32 v0, vcc_lo, v3, s0
	v_add_co_ci_u32_e32 v1, vcc_lo, s1, v4, vcc_lo
	global_load_dword v130, v[6:7], off offset:556
	v_add_co_u32 v3, vcc_lo, v0, s12
	v_add_co_ci_u32_e32 v4, vcc_lo, s13, v1, vcc_lo
	global_load_dword v16, v[0:1], off
	v_add_co_u32 v0, vcc_lo, v3, s12
	v_add_co_ci_u32_e32 v1, vcc_lo, s13, v4, vcc_lo
	global_load_dword v17, v[3:4], off
	;; [unrolled: 3-line block ×3, first 2 shown]
	global_load_dword v129, v[56:57], off offset:608
	global_load_dword v19, v[3:4], off
	v_add_co_u32 v0, vcc_lo, v3, s12
	v_add_co_ci_u32_e32 v1, vcc_lo, s13, v4, vcc_lo
	global_load_dword v128, v113, s[6:7] offset:756
	v_add_co_u32 v3, vcc_lo, v0, s12
	v_add_co_ci_u32_e32 v4, vcc_lo, s13, v1, vcc_lo
	global_load_dword v20, v[0:1], off
	s_clause 0x1
	global_load_dword v127, v[6:7], off offset:808
	global_load_dword v125, v113, s[6:7] offset:1008
	global_load_dword v21, v[3:4], off
	v_add_co_u32 v0, vcc_lo, v3, s0
	v_add_co_ci_u32_e32 v1, vcc_lo, s1, v4, vcc_lo
	global_load_dword v126, v[56:57], off offset:860
	v_add_co_u32 v3, vcc_lo, v0, s12
	v_add_co_ci_u32_e32 v4, vcc_lo, s13, v1, vcc_lo
	global_load_dword v22, v[0:1], off
	v_add_co_u32 v0, vcc_lo, v3, s12
	v_add_co_ci_u32_e32 v1, vcc_lo, s13, v4, vcc_lo
	global_load_dword v23, v[3:4], off
	global_load_dword v124, v[6:7], off offset:1060
	global_load_dword v25, v[0:1], off
	v_add_co_u32 v0, vcc_lo, v0, s0
	v_add_co_ci_u32_e32 v1, vcc_lo, s1, v1, vcc_lo
	global_load_dword v123, v[56:57], off offset:1112
	v_add_co_u32 v3, vcc_lo, v0, s12
	v_add_co_ci_u32_e32 v4, vcc_lo, s13, v1, vcc_lo
	global_load_dword v26, v[0:1], off
	s_clause 0x1
	global_load_dword v122, v113, s[6:7] offset:1260
	global_load_dword v121, v[6:7], off offset:1312
	global_load_dword v27, v[3:4], off
	v_add_co_u32 v0, vcc_lo, v3, s12
	v_add_co_ci_u32_e32 v1, vcc_lo, s13, v4, vcc_lo
	global_load_dword v120, v[56:57], off offset:1364
	v_add_co_u32 v3, vcc_lo, v0, s0
	v_add_co_ci_u32_e32 v4, vcc_lo, s1, v1, vcc_lo
	global_load_dword v28, v[0:1], off
	v_add_co_u32 v0, vcc_lo, v3, s12
	v_add_co_ci_u32_e32 v1, vcc_lo, s13, v4, vcc_lo
	s_clause 0x1
	global_load_dword v119, v113, s[6:7] offset:1512
	global_load_dword v116, v113, s[6:7] offset:1764
	global_load_dword v29, v[3:4], off
	global_load_dword v118, v[6:7], off offset:1564
	global_load_dword v30, v[0:1], off
	v_add_co_u32 v0, vcc_lo, v0, s12
	v_add_co_ci_u32_e32 v1, vcc_lo, s13, v1, vcc_lo
	global_load_dword v117, v[56:57], off offset:1616
	v_add_co_u32 v3, vcc_lo, v0, s0
	v_add_co_ci_u32_e32 v4, vcc_lo, s1, v1, vcc_lo
	global_load_dword v31, v[0:1], off
	v_add_co_u32 v8, vcc_lo, v3, s12
	v_add_co_ci_u32_e32 v9, vcc_lo, s13, v4, vcc_lo
	global_load_dword v32, v[3:4], off
	;; [unrolled: 3-line block ×3, first 2 shown]
	global_load_dword v9, v[0:1], off
	s_clause 0x1
	global_load_dword v115, v[6:7], off offset:1816
	global_load_dword v114, v[56:57], off offset:1868
	s_load_dwordx2 s[6:7], s[4:5], 0x38
	s_load_dwordx4 s[8:11], s[2:3], 0x0
	v_add_nc_u32_e32 v3, 0x800, v113
	v_add_nc_u32_e32 v4, 0x1000, v113
	;; [unrolled: 1-line block ×3, first 2 shown]
	v_cmp_gt_u16_e32 vcc_lo, 21, v2
	s_waitcnt vmcnt(45)
	v_lshrrev_b32_e32 v6, 16, v10
	v_mul_f16_sdwa v34, v138, v10 dst_sel:DWORD dst_unused:UNUSED_PAD src0_sel:WORD_1 src1_sel:DWORD
	v_mul_f16_sdwa v35, v138, v6 dst_sel:DWORD dst_unused:UNUSED_PAD src0_sel:WORD_1 src1_sel:DWORD
	v_fma_f16 v6, v138, v6, -v34
	s_waitcnt vmcnt(44)
	v_lshrrev_b32_e32 v36, 16, v11
	v_mul_f16_sdwa v37, v137, v11 dst_sel:DWORD dst_unused:UNUSED_PAD src0_sel:WORD_1 src1_sel:DWORD
	v_fmac_f16_e32 v35, v138, v10
	s_waitcnt vmcnt(43)
	v_lshrrev_b32_e32 v34, 16, v12
	v_mul_f16_sdwa v10, v137, v36 dst_sel:DWORD dst_unused:UNUSED_PAD src0_sel:WORD_1 src1_sel:DWORD
	v_fma_f16 v36, v137, v36, -v37
	s_waitcnt vmcnt(41)
	v_mul_f16_sdwa v37, v136, v12 dst_sel:DWORD dst_unused:UNUSED_PAD src0_sel:WORD_1 src1_sel:DWORD
	v_pack_b32_f16 v6, v35, v6
	s_waitcnt vmcnt(40)
	v_lshrrev_b32_e32 v35, 16, v13
	v_fmac_f16_e32 v10, v137, v11
	v_mul_f16_sdwa v11, v136, v34 dst_sel:DWORD dst_unused:UNUSED_PAD src0_sel:WORD_1 src1_sel:DWORD
	v_mul_f16_sdwa v38, v134, v13 dst_sel:DWORD dst_unused:UNUSED_PAD src0_sel:WORD_1 src1_sel:DWORD
	v_fma_f16 v34, v136, v34, -v37
	s_waitcnt vmcnt(38)
	v_mul_f16_sdwa v37, v133, v14 dst_sel:DWORD dst_unused:UNUSED_PAD src0_sel:WORD_1 src1_sel:DWORD
	v_pack_b32_f16 v10, v10, v36
	v_fmac_f16_e32 v11, v136, v12
	v_mul_f16_sdwa v12, v134, v35 dst_sel:DWORD dst_unused:UNUSED_PAD src0_sel:WORD_1 src1_sel:DWORD
	v_lshrrev_b32_e32 v36, 16, v14
	v_fma_f16 v35, v134, v35, -v38
	ds_write_b32 v113, v10 offset:2100
	v_pack_b32_f16 v10, v11, v34
	v_fmac_f16_e32 v12, v134, v13
	v_mul_f16_sdwa v11, v133, v36 dst_sel:DWORD dst_unused:UNUSED_PAD src0_sel:WORD_1 src1_sel:DWORD
	v_fma_f16 v13, v133, v36, -v37
	s_waitcnt vmcnt(35)
	v_lshrrev_b32_e32 v34, 16, v15
	v_mul_f16_sdwa v36, v132, v15 dst_sel:DWORD dst_unused:UNUSED_PAD src0_sel:WORD_1 src1_sel:DWORD
	ds_write_b32 v113, v10 offset:4200
	v_pack_b32_f16 v10, v12, v35
	v_fmac_f16_e32 v11, v133, v14
	v_mul_f16_sdwa v12, v132, v34 dst_sel:DWORD dst_unused:UNUSED_PAD src0_sel:WORD_1 src1_sel:DWORD
	v_fma_f16 v14, v132, v34, -v36
	s_waitcnt vmcnt(33)
	v_lshrrev_b32_e32 v34, 16, v16
	v_mul_f16_sdwa v35, v131, v16 dst_sel:DWORD dst_unused:UNUSED_PAD src0_sel:WORD_1 src1_sel:DWORD
	ds_write2_b32 v113, v6, v10 offset1:63
	v_pack_b32_f16 v6, v11, v13
	v_fmac_f16_e32 v12, v132, v15
	v_mul_f16_sdwa v10, v131, v34 dst_sel:DWORD dst_unused:UNUSED_PAD src0_sel:WORD_1 src1_sel:DWORD
	s_waitcnt vmcnt(32)
	v_lshrrev_b32_e32 v11, 16, v17
	v_fma_f16 v13, v131, v34, -v35
	v_mul_f16_sdwa v15, v130, v17 dst_sel:DWORD dst_unused:UNUSED_PAD src0_sel:WORD_1 src1_sel:DWORD
	v_pack_b32_f16 v12, v12, v14
	v_fmac_f16_e32 v10, v131, v16
	v_mul_f16_sdwa v14, v130, v11 dst_sel:DWORD dst_unused:UNUSED_PAD src0_sel:WORD_1 src1_sel:DWORD
	s_waitcnt vmcnt(31)
	v_lshrrev_b32_e32 v16, 16, v18
	v_fma_f16 v11, v130, v11, -v15
	s_waitcnt vmcnt(30)
	v_mul_f16_sdwa v15, v129, v18 dst_sel:DWORD dst_unused:UNUSED_PAD src0_sel:WORD_1 src1_sel:DWORD
	v_pack_b32_f16 v10, v10, v13
	v_fmac_f16_e32 v14, v130, v17
	v_mul_f16_sdwa v13, v129, v16 dst_sel:DWORD dst_unused:UNUSED_PAD src0_sel:WORD_1 src1_sel:DWORD
	s_waitcnt vmcnt(29)
	v_lshrrev_b32_e32 v17, 16, v19
	s_waitcnt vmcnt(28)
	v_mul_f16_sdwa v34, v128, v19 dst_sel:DWORD dst_unused:UNUSED_PAD src0_sel:WORD_1 src1_sel:DWORD
	v_fma_f16 v15, v129, v16, -v15
	v_pack_b32_f16 v11, v14, v11
	v_fmac_f16_e32 v13, v129, v18
	v_mul_f16_sdwa v14, v128, v17 dst_sel:DWORD dst_unused:UNUSED_PAD src0_sel:WORD_1 src1_sel:DWORD
	v_fma_f16 v16, v128, v17, -v34
	s_waitcnt vmcnt(27)
	v_lshrrev_b32_e32 v17, 16, v20
	s_waitcnt vmcnt(26)
	v_mul_f16_sdwa v18, v127, v20 dst_sel:DWORD dst_unused:UNUSED_PAD src0_sel:WORD_1 src1_sel:DWORD
	ds_write2_b32 v3, v6, v11 offset0:76 offset1:139
	v_pack_b32_f16 v6, v13, v15
	v_fmac_f16_e32 v14, v128, v19
	v_mul_f16_sdwa v11, v127, v17 dst_sel:DWORD dst_unused:UNUSED_PAD src0_sel:WORD_1 src1_sel:DWORD
	v_fma_f16 v13, v127, v17, -v18
	s_waitcnt vmcnt(24)
	v_lshrrev_b32_e32 v15, 16, v21
	s_waitcnt vmcnt(23)
	v_mul_f16_sdwa v17, v126, v21 dst_sel:DWORD dst_unused:UNUSED_PAD src0_sel:WORD_1 src1_sel:DWORD
	ds_write2_b32 v4, v12, v6 offset0:89 offset1:152
	v_pack_b32_f16 v6, v14, v16
	v_fmac_f16_e32 v11, v127, v20
	v_mul_f16_sdwa v12, v126, v15 dst_sel:DWORD dst_unused:UNUSED_PAD src0_sel:WORD_1 src1_sel:DWORD
	v_fma_f16 v14, v126, v15, -v17
	s_waitcnt vmcnt(22)
	v_lshrrev_b32_e32 v15, 16, v22
	v_mul_f16_sdwa v16, v125, v22 dst_sel:DWORD dst_unused:UNUSED_PAD src0_sel:WORD_1 src1_sel:DWORD
	ds_write2_b32 v113, v10, v6 offset0:126 offset1:189
	v_pack_b32_f16 v6, v11, v13
	v_fmac_f16_e32 v12, v126, v21
	v_mul_f16_sdwa v10, v125, v15 dst_sel:DWORD dst_unused:UNUSED_PAD src0_sel:WORD_1 src1_sel:DWORD
	s_waitcnt vmcnt(21)
	v_lshrrev_b32_e32 v11, 16, v23
	v_fma_f16 v13, v125, v15, -v16
	s_waitcnt vmcnt(20)
	v_mul_f16_sdwa v15, v124, v23 dst_sel:DWORD dst_unused:UNUSED_PAD src0_sel:WORD_1 src1_sel:DWORD
	v_pack_b32_f16 v12, v12, v14
	v_fmac_f16_e32 v10, v125, v22
	v_mul_f16_sdwa v14, v124, v11 dst_sel:DWORD dst_unused:UNUSED_PAD src0_sel:WORD_1 src1_sel:DWORD
	s_waitcnt vmcnt(19)
	v_lshrrev_b32_e32 v16, 16, v25
	v_fma_f16 v11, v124, v11, -v15
	s_waitcnt vmcnt(18)
	v_mul_f16_sdwa v15, v123, v25 dst_sel:DWORD dst_unused:UNUSED_PAD src0_sel:WORD_1 src1_sel:DWORD
	v_pack_b32_f16 v10, v10, v13
	v_fmac_f16_e32 v14, v124, v23
	v_mul_f16_sdwa v13, v123, v16 dst_sel:DWORD dst_unused:UNUSED_PAD src0_sel:WORD_1 src1_sel:DWORD
	s_waitcnt vmcnt(17)
	v_lshrrev_b32_e32 v17, 16, v26
	s_waitcnt vmcnt(16)
	v_mul_f16_sdwa v18, v122, v26 dst_sel:DWORD dst_unused:UNUSED_PAD src0_sel:WORD_1 src1_sel:DWORD
	v_fma_f16 v15, v123, v16, -v15
	v_pack_b32_f16 v11, v14, v11
	v_fmac_f16_e32 v13, v123, v25
	v_mul_f16_sdwa v14, v122, v17 dst_sel:DWORD dst_unused:UNUSED_PAD src0_sel:WORD_1 src1_sel:DWORD
	v_fma_f16 v16, v122, v17, -v18
	s_waitcnt vmcnt(14)
	v_lshrrev_b32_e32 v17, 16, v27
	ds_write2_b32 v7, v6, v11 offset0:74 offset1:137
	v_pack_b32_f16 v6, v13, v15
	v_fmac_f16_e32 v14, v122, v26
	s_waitcnt vmcnt(12)
	v_lshrrev_b32_e32 v13, 16, v28
	v_mul_f16_sdwa v18, v121, v27 dst_sel:DWORD dst_unused:UNUSED_PAD src0_sel:WORD_1 src1_sel:DWORD
	v_mul_f16_sdwa v7, v121, v17 dst_sel:DWORD dst_unused:UNUSED_PAD src0_sel:WORD_1 src1_sel:DWORD
	;; [unrolled: 1-line block ×3, first 2 shown]
	ds_write2_b32 v33, v12, v6 offset0:87 offset1:150
	v_pack_b32_f16 v6, v14, v16
	v_mul_f16_sdwa v12, v120, v13 dst_sel:DWORD dst_unused:UNUSED_PAD src0_sel:WORD_1 src1_sel:DWORD
	v_fma_f16 v11, v121, v17, -v18
	v_fmac_f16_e32 v7, v121, v27
	s_waitcnt vmcnt(9)
	v_lshrrev_b32_e32 v14, 16, v29
	v_fma_f16 v13, v120, v13, -v15
	v_mul_f16_sdwa v15, v119, v29 dst_sel:DWORD dst_unused:UNUSED_PAD src0_sel:WORD_1 src1_sel:DWORD
	ds_write2_b32 v5, v10, v6 offset0:124 offset1:187
	v_fmac_f16_e32 v12, v120, v28
	s_waitcnt vmcnt(7)
	v_lshrrev_b32_e32 v10, 16, v30
	v_pack_b32_f16 v6, v7, v11
	v_mul_f16_sdwa v7, v119, v14 dst_sel:DWORD dst_unused:UNUSED_PAD src0_sel:WORD_1 src1_sel:DWORD
	v_fma_f16 v11, v119, v14, -v15
	v_mul_f16_sdwa v14, v118, v30 dst_sel:DWORD dst_unused:UNUSED_PAD src0_sel:WORD_1 src1_sel:DWORD
	v_pack_b32_f16 v12, v12, v13
	v_mul_f16_sdwa v13, v118, v10 dst_sel:DWORD dst_unused:UNUSED_PAD src0_sel:WORD_1 src1_sel:DWORD
	v_fmac_f16_e32 v7, v119, v29
	s_waitcnt vmcnt(5)
	v_lshrrev_b32_e32 v15, 16, v31
	v_fma_f16 v10, v118, v10, -v14
	v_mul_f16_sdwa v14, v117, v31 dst_sel:DWORD dst_unused:UNUSED_PAD src0_sel:WORD_1 src1_sel:DWORD
	v_fmac_f16_e32 v13, v118, v30
	s_waitcnt vmcnt(4)
	v_lshrrev_b32_e32 v16, 16, v32
	v_mul_f16_sdwa v17, v116, v32 dst_sel:DWORD dst_unused:UNUSED_PAD src0_sel:WORD_1 src1_sel:DWORD
	v_pack_b32_f16 v7, v7, v11
	v_mul_f16_sdwa v11, v117, v15 dst_sel:DWORD dst_unused:UNUSED_PAD src0_sel:WORD_1 src1_sel:DWORD
	v_fma_f16 v14, v117, v15, -v14
	v_pack_b32_f16 v10, v13, v10
	v_mul_f16_sdwa v13, v116, v16 dst_sel:DWORD dst_unused:UNUSED_PAD src0_sel:WORD_1 src1_sel:DWORD
	v_fma_f16 v15, v116, v16, -v17
	s_waitcnt vmcnt(3)
	v_lshrrev_b32_e32 v16, 16, v8
	v_fmac_f16_e32 v11, v117, v31
	s_waitcnt vmcnt(2)
	v_lshrrev_b32_e32 v17, 16, v9
	s_waitcnt vmcnt(1)
	v_mul_f16_sdwa v18, v115, v8 dst_sel:DWORD dst_unused:UNUSED_PAD src0_sel:WORD_1 src1_sel:DWORD
	ds_write2_b32 v24, v6, v10 offset0:72 offset1:135
	v_mul_f16_sdwa v10, v115, v16 dst_sel:DWORD dst_unused:UNUSED_PAD src0_sel:WORD_1 src1_sel:DWORD
	v_pack_b32_f16 v6, v11, v14
	s_waitcnt vmcnt(0)
	v_mul_f16_sdwa v11, v114, v17 dst_sel:DWORD dst_unused:UNUSED_PAD src0_sel:WORD_1 src1_sel:DWORD
	v_mul_f16_sdwa v14, v114, v9 dst_sel:DWORD dst_unused:UNUSED_PAD src0_sel:WORD_1 src1_sel:DWORD
	v_fmac_f16_e32 v13, v116, v32
	v_fma_f16 v16, v115, v16, -v18
	v_fmac_f16_e32 v10, v115, v8
	v_fmac_f16_e32 v11, v114, v9
	v_fma_f16 v8, v114, v17, -v14
	v_add_nc_u32_e32 v25, 0x1400, v113
	v_add_nc_u32_e32 v26, 0x400, v113
	v_pack_b32_f16 v9, v13, v15
	v_pack_b32_f16 v10, v10, v16
	;; [unrolled: 1-line block ×3, first 2 shown]
	ds_write2_b32 v25, v12, v6 offset0:85 offset1:148
	ds_write2_b32 v26, v7, v9 offset0:122 offset1:185
	ds_write_b32 v113, v10 offset:3864
	ds_write_b32 v113, v8 offset:5964
	s_and_saveexec_b32 s2, vcc_lo
	s_cbranch_execz .LBB0_3
; %bb.2:
	v_add_co_u32 v0, s0, v0, s0
	v_add_co_ci_u32_e64 v1, s0, s1, v1, s0
	v_add_co_u32 v6, s0, v0, s12
	v_add_co_ci_u32_e64 v7, s0, s13, v1, s0
	;; [unrolled: 2-line block ×3, first 2 shown]
	global_load_dword v2, v[58:59], off offset:2016
	global_load_dword v10, v[0:1], off
	global_load_dword v6, v[6:7], off
	;; [unrolled: 1-line block ×3, first 2 shown]
	v_add_co_u32 v0, s0, 0x1800, v58
	v_add_co_ci_u32_e64 v1, s0, 0, v59, s0
	s_clause 0x1
	global_load_dword v8, v[56:57], off offset:20
	global_load_dword v0, v[0:1], off offset:72
	s_waitcnt vmcnt(4)
	v_lshrrev_b32_e32 v1, 16, v10
	v_mul_f16_sdwa v9, v2, v10 dst_sel:DWORD dst_unused:UNUSED_PAD src0_sel:WORD_1 src1_sel:DWORD
	s_waitcnt vmcnt(3)
	v_lshrrev_b32_e32 v11, 16, v6
	s_waitcnt vmcnt(2)
	v_lshrrev_b32_e32 v12, 16, v7
	v_mul_f16_sdwa v13, v2, v1 dst_sel:DWORD dst_unused:UNUSED_PAD src0_sel:WORD_1 src1_sel:DWORD
	v_fma_f16 v1, v2, v1, -v9
	s_waitcnt vmcnt(1)
	v_mul_f16_sdwa v9, v8, v6 dst_sel:DWORD dst_unused:UNUSED_PAD src0_sel:WORD_1 src1_sel:DWORD
	v_mul_f16_sdwa v14, v8, v11 dst_sel:DWORD dst_unused:UNUSED_PAD src0_sel:WORD_1 src1_sel:DWORD
	s_waitcnt vmcnt(0)
	v_mul_f16_sdwa v15, v0, v12 dst_sel:DWORD dst_unused:UNUSED_PAD src0_sel:WORD_1 src1_sel:DWORD
	v_mul_f16_sdwa v16, v0, v7 dst_sel:DWORD dst_unused:UNUSED_PAD src0_sel:WORD_1 src1_sel:DWORD
	v_fmac_f16_e32 v13, v2, v10
	v_fma_f16 v2, v8, v11, -v9
	v_fmac_f16_e32 v14, v8, v6
	v_fmac_f16_e32 v15, v0, v7
	v_fma_f16 v0, v0, v12, -v16
	v_pack_b32_f16 v1, v13, v1
	v_pack_b32_f16 v2, v14, v2
	v_pack_b32_f16 v0, v15, v0
	ds_write_b32 v113, v1 offset:2016
	ds_write_b32 v113, v2 offset:4116
	;; [unrolled: 1-line block ×3, first 2 shown]
.LBB0_3:
	s_or_b32 exec_lo, exec_lo, s2
	s_waitcnt lgkmcnt(0)
	s_barrier
	buffer_gl0_inv
	ds_read2_b32 v[20:21], v113 offset1:63
	ds_read2_b32 v[22:23], v3 offset0:13 offset1:76
	ds_read2_b32 v[18:19], v4 offset0:26 offset1:89
	;; [unrolled: 1-line block ×11, first 2 shown]
                                        ; implicit-def: $vgpr24
                                        ; implicit-def: $vgpr25
                                        ; implicit-def: $vgpr26
	s_and_saveexec_b32 s0, vcc_lo
	s_cbranch_execz .LBB0_5
; %bb.4:
	ds_read_b32 v25, v113 offset:2016
	ds_read_b32 v26, v113 offset:4116
	;; [unrolled: 1-line block ×3, first 2 shown]
.LBB0_5:
	s_or_b32 exec_lo, exec_lo, s0
	v_add_co_u32 v96, s0, v135, 63
	v_add_co_ci_u32_e64 v27, null, 0, 0, s0
	v_add_co_u32 v95, s0, 0x7e, v135
	v_add_co_ci_u32_e64 v27, null, 0, 0, s0
	;; [unrolled: 2-line block ×6, first 2 shown]
	s_waitcnt lgkmcnt(0)
	v_pk_add_f16 v27, v24, v26
	v_pk_add_f16 v31, v26, v24 neg_lo:[0,1] neg_hi:[0,1]
	v_pk_add_f16 v26, v25, v26
	v_pk_add_f16 v28, v20, v22
	;; [unrolled: 1-line block ×3, first 2 shown]
	v_pk_fma_f16 v27, v27, 0.5, v25 op_sel_hi:[1,0,1] neg_lo:[1,0,0] neg_hi:[1,0,0]
	v_pk_mul_f16 v31, 0x3aee, v31 op_sel_hi:[0,1]
	v_pk_add_f16 v25, v24, v26
	v_pk_add_f16 v24, v22, v18
	v_pk_add_f16 v22, v22, v18 neg_lo:[0,1] neg_hi:[0,1]
	v_mov_b32_e32 v38, 2
	v_pk_add_f16 v26, v27, v31 op_sel:[0,1] op_sel_hi:[1,0] neg_lo:[0,1] neg_hi:[0,1]
	v_pk_add_f16 v27, v31, v27 op_sel:[1,0] op_sel_hi:[0,1]
	v_pk_fma_f16 v20, v24, 0.5, v20 op_sel_hi:[1,0,1] neg_lo:[1,0,0] neg_hi:[1,0,0]
	v_pk_add_f16 v24, v23, v19
	v_pk_add_f16 v23, v23, v19 neg_lo:[0,1] neg_hi:[0,1]
	v_pk_mul_f16 v22, 0x3aee, v22 op_sel_hi:[0,1]
	v_mul_lo_u16 v31, v135, 3
	v_pk_add_f16 v18, v28, v18
	v_pk_fma_f16 v21, v24, 0.5, v21 op_sel_hi:[1,0,1] neg_lo:[1,0,0] neg_hi:[1,0,0]
	v_pk_mul_f16 v23, 0x3aee, v23 op_sel_hi:[0,1]
	v_pk_add_f16 v24, v20, v22 op_sel:[0,1] op_sel_hi:[1,0]
	v_pk_add_f16 v20, v20, v22 op_sel:[0,1] op_sel_hi:[1,0] neg_lo:[0,1] neg_hi:[0,1]
	v_lshlrev_b32_sdwa v143, v38, v31 dst_sel:DWORD dst_unused:UNUSED_PAD src0_sel:DWORD src1_sel:WORD_0
	v_pk_add_f16 v30, v14, v16
	v_pk_add_f16 v28, v21, v23 op_sel:[0,1] op_sel_hi:[1,0]
	v_pk_add_f16 v21, v21, v23 op_sel:[0,1] op_sel_hi:[1,0] neg_lo:[0,1] neg_hi:[0,1]
	v_bfi_b32 v23, 0xffff, v24, v20
	s_barrier
	buffer_gl0_inv
	v_mul_u32_u24_e32 v22, 3, v96
	ds_write2_b32 v143, v18, v23 offset1:1
	v_pk_add_f16 v18, v16, v12
	v_pk_add_f16 v16, v16, v12 neg_lo:[0,1] neg_hi:[0,1]
	v_pk_add_f16 v32, v15, v17
	v_bfi_b32 v20, 0xffff, v20, v24
	v_lshlrev_b32_e32 v140, 2, v22
	v_pk_fma_f16 v14, v18, 0.5, v14 op_sel_hi:[1,0,1] neg_lo:[1,0,0] neg_hi:[1,0,0]
	v_pk_add_f16 v18, v17, v13
	v_pk_add_f16 v17, v17, v13 neg_lo:[0,1] neg_hi:[0,1]
	v_pk_mul_f16 v16, 0x3aee, v16 op_sel_hi:[0,1]
	v_pk_add_f16 v19, v29, v19
	v_bfi_b32 v22, 0xffff, v28, v21
	ds_write_b32 v143, v20 offset:8
	ds_write2_b32 v140, v19, v22 offset1:1
	v_mul_u32_u24_e32 v19, 3, v95
	v_pk_fma_f16 v15, v18, 0.5, v15 op_sel_hi:[1,0,1] neg_lo:[1,0,0] neg_hi:[1,0,0]
	v_pk_mul_f16 v17, 0x3aee, v17 op_sel_hi:[0,1]
	v_pk_add_f16 v18, v14, v16 op_sel:[0,1] op_sel_hi:[1,0]
	v_pk_add_f16 v14, v14, v16 op_sel:[0,1] op_sel_hi:[1,0] neg_lo:[0,1] neg_hi:[0,1]
	v_bfi_b32 v20, 0xffff, v21, v28
	v_add_co_u32 v94, null, 0xbd, v135
	v_lshlrev_b32_e32 v139, 2, v19
	v_pk_add_f16 v12, v30, v12
	v_pk_add_f16 v19, v15, v17 op_sel:[0,1] op_sel_hi:[1,0]
	v_pk_add_f16 v15, v15, v17 op_sel:[0,1] op_sel_hi:[1,0] neg_lo:[0,1] neg_hi:[0,1]
	v_bfi_b32 v17, 0xffff, v18, v14
	v_pk_add_f16 v34, v8, v10
	ds_write_b32 v140, v20 offset:8
	ds_write2_b32 v139, v12, v17 offset1:1
	v_pk_add_f16 v12, v10, v6
	v_pk_add_f16 v10, v10, v6 neg_lo:[0,1] neg_hi:[0,1]
	v_mul_u32_u24_e32 v16, 3, v94
	v_pk_add_f16 v35, v9, v11
	v_bfi_b32 v14, 0xffff, v14, v18
	v_pk_fma_f16 v8, v12, 0.5, v8 op_sel_hi:[1,0,1] neg_lo:[1,0,0] neg_hi:[1,0,0]
	v_pk_add_f16 v12, v11, v7
	v_pk_add_f16 v11, v11, v7 neg_lo:[0,1] neg_hi:[0,1]
	v_pk_mul_f16 v10, 0x3aee, v10 op_sel_hi:[0,1]
	v_lshlrev_b32_e32 v141, 2, v16
	v_pk_add_f16 v13, v32, v13
	v_bfi_b32 v16, 0xffff, v19, v15
	ds_write_b32 v139, v14 offset:8
	ds_write2_b32 v141, v13, v16 offset1:1
	v_mul_u32_u24_e32 v13, 3, v93
	v_pk_fma_f16 v9, v12, 0.5, v9 op_sel_hi:[1,0,1] neg_lo:[1,0,0] neg_hi:[1,0,0]
	v_pk_mul_f16 v11, 0x3aee, v11 op_sel_hi:[0,1]
	v_pk_add_f16 v12, v8, v10 op_sel:[0,1] op_sel_hi:[1,0]
	v_pk_add_f16 v8, v8, v10 op_sel:[0,1] op_sel_hi:[1,0] neg_lo:[0,1] neg_hi:[0,1]
	v_bfi_b32 v14, 0xffff, v15, v19
	v_lshlrev_b32_e32 v144, 2, v13
	v_pk_add_f16 v6, v34, v6
	v_pk_add_f16 v13, v9, v11 op_sel:[0,1] op_sel_hi:[1,0]
	v_pk_add_f16 v9, v9, v11 op_sel:[0,1] op_sel_hi:[1,0] neg_lo:[0,1] neg_hi:[0,1]
	v_bfi_b32 v11, 0xffff, v12, v8
	v_bfi_b32 v8, 0xffff, v8, v12
	v_mul_u32_u24_e32 v10, 3, v48
	ds_write_b32 v141, v14 offset:8
	ds_write2_b32 v144, v6, v11 offset1:1
	ds_write_b32 v144, v8 offset:8
	v_pk_add_f16 v6, v4, v0
	s_load_dwordx2 s[2:3], s[4:5], 0x8
	v_pk_add_f16 v36, v2, v4
	v_pk_add_f16 v4, v4, v0 neg_lo:[0,1] neg_hi:[0,1]
	v_pk_add_f16 v37, v3, v5
	v_lshlrev_b32_e32 v142, 2, v10
	v_pk_add_f16 v7, v35, v7
	v_bfi_b32 v10, 0xffff, v13, v9
	v_pk_fma_f16 v2, v6, 0.5, v2 op_sel_hi:[1,0,1] neg_lo:[1,0,0] neg_hi:[1,0,0]
	v_pk_add_f16 v6, v5, v1
	v_pk_add_f16 v5, v5, v1 neg_lo:[0,1] neg_hi:[0,1]
	v_pk_mul_f16 v4, 0x3aee, v4 op_sel_hi:[0,1]
	ds_write2_b32 v142, v7, v10 offset1:1
	v_bfi_b32 v7, 0xffff, v9, v13
	v_pk_fma_f16 v3, v6, 0.5, v3 op_sel_hi:[1,0,1] neg_lo:[1,0,0] neg_hi:[1,0,0]
	v_pk_mul_f16 v5, 0x3aee, v5 op_sel_hi:[0,1]
	v_add_co_u32 v33, null, 0x1f8, v135
	v_mul_u32_u24_e32 v8, 3, v41
	v_pk_add_f16 v6, v2, v4 op_sel:[0,1] op_sel_hi:[1,0]
	v_pk_add_f16 v2, v2, v4 op_sel:[0,1] op_sel_hi:[1,0] neg_lo:[0,1] neg_hi:[0,1]
	v_mul_u32_u24_e32 v4, 3, v42
	ds_write_b32 v142, v7 offset:8
	v_pk_add_f16 v7, v3, v5 op_sel:[0,1] op_sel_hi:[1,0]
	v_pk_add_f16 v3, v3, v5 op_sel:[0,1] op_sel_hi:[1,0] neg_lo:[0,1] neg_hi:[0,1]
	v_lshlrev_b32_e32 v145, 2, v8
	v_pk_add_f16 v0, v36, v0
	v_bfi_b32 v5, 0xffff, v6, v2
	v_lshlrev_b32_e32 v147, 2, v4
	v_mul_u32_u24_e32 v146, 3, v33
	v_bfi_b32 v2, 0xffff, v2, v6
	v_pk_add_f16 v1, v37, v1
	v_bfi_b32 v4, 0xffff, v7, v3
	v_bfi_b32 v3, 0xffff, v3, v7
	ds_write2_b32 v145, v0, v5 offset1:1
	ds_write_b32 v145, v2 offset:8
	ds_write2_b32 v147, v1, v4 offset1:1
	ds_write_b32 v147, v3 offset:8
	s_and_saveexec_b32 s0, vcc_lo
	s_cbranch_execz .LBB0_7
; %bb.6:
	v_lshlrev_b32_e32 v0, 2, v146
	v_bfi_b32 v1, 0xffff, v26, v27
	v_bfi_b32 v2, 0xffff, v27, v26
	ds_write_b32 v0, v25
	ds_write2_b32 v0, v2, v1 offset0:1 offset1:2
.LBB0_7:
	s_or_b32 exec_lo, exec_lo, s0
	v_add_nc_u32_e32 v4, 0x800, v113
	v_add_nc_u32_e32 v5, 0x1000, v113
	s_waitcnt lgkmcnt(0)
	s_barrier
	buffer_gl0_inv
	ds_read2_b32 v[0:1], v113 offset1:63
	ds_read2_b32 v[10:11], v4 offset0:13 offset1:76
	ds_read2_b32 v[8:9], v5 offset0:26 offset1:89
	;; [unrolled: 1-line block ×4, first 2 shown]
	v_add_nc_u32_e32 v4, 0x200, v113
	v_add_nc_u32_e32 v14, 0xc00, v113
	;; [unrolled: 1-line block ×4, first 2 shown]
	ds_read2_b32 v[20:21], v5 offset0:152 offset1:215
	ds_read2_b32 v[6:7], v4 offset0:124 offset1:187
	;; [unrolled: 1-line block ×7, first 2 shown]
	v_lshrrev_b32_e32 v32, 16, v26
	s_and_saveexec_b32 s0, vcc_lo
	s_cbranch_execz .LBB0_9
; %bb.8:
	ds_read_b32 v24, v113 offset:4116
	ds_read_b32 v26, v113 offset:6216
	;; [unrolled: 1-line block ×3, first 2 shown]
	s_waitcnt lgkmcnt(2)
	v_lshrrev_b32_e32 v32, 16, v24
	s_waitcnt lgkmcnt(1)
	v_bfi_b32 v27, 0xffff, v24, v26
.LBB0_9:
	s_or_b32 exec_lo, exec_lo, s0
	v_and_b32_e32 v31, 0xff, v135
	v_and_b32_e32 v30, 0xff, v96
	;; [unrolled: 1-line block ×4, first 2 shown]
	v_mov_b32_e32 v50, 0xaaab
	v_mul_lo_u16 v34, 0xab, v31
	v_mul_lo_u16 v35, 0xab, v30
	;; [unrolled: 1-line block ×4, first 2 shown]
	v_mul_u32_u24_sdwa v38, v93, v50 dst_sel:DWORD dst_unused:UNUSED_PAD src0_sel:WORD_0 src1_sel:DWORD
	v_lshrrev_b16 v34, 9, v34
	v_mul_u32_u24_sdwa v40, v48, v50 dst_sel:DWORD dst_unused:UNUSED_PAD src0_sel:WORD_0 src1_sel:DWORD
	v_lshrrev_b16 v35, 9, v35
	v_lshrrev_b16 v36, 9, v36
	;; [unrolled: 1-line block ×3, first 2 shown]
	v_mul_lo_u16 v39, v34, 3
	v_mul_u32_u24_sdwa v46, v41, v50 dst_sel:DWORD dst_unused:UNUSED_PAD src0_sel:WORD_0 src1_sel:DWORD
	v_mul_lo_u16 v43, v35, 3
	v_mul_lo_u16 v45, v36, 3
	;; [unrolled: 1-line block ×3, first 2 shown]
	v_sub_nc_u16 v44, v135, v39
	v_lshrrev_b32_e32 v39, 17, v38
	v_sub_nc_u16 v43, v96, v43
	v_sub_nc_u16 v45, v95, v45
	;; [unrolled: 1-line block ×3, first 2 shown]
	v_and_b32_e32 v38, 0xff, v44
	v_lshrrev_b32_e32 v44, 17, v40
	v_mul_lo_u16 v52, v39, 3
	v_lshrrev_b32_e32 v46, 17, v46
	v_mul_u32_u24_sdwa v49, v42, v50 dst_sel:DWORD dst_unused:UNUSED_PAD src0_sel:WORD_0 src1_sel:DWORD
	v_lshlrev_b32_e32 v51, 3, v38
	v_mul_lo_u16 v54, v44, 3
	v_and_b32_e32 v40, 0xff, v43
	v_and_b32_e32 v43, 0xff, v45
	;; [unrolled: 1-line block ×3, first 2 shown]
	v_sub_nc_u16 v47, v93, v52
	v_sub_nc_u16 v48, v48, v54
	global_load_dwordx2 v[65:66], v51, s[2:3]
	v_mul_lo_u16 v51, v46, 3
	v_mul_u32_u24_sdwa v50, v33, v50 dst_sel:DWORD dst_unused:UNUSED_PAD src0_sel:WORD_0 src1_sel:DWORD
	v_lshrrev_b32_e32 v49, 17, v49
	v_mov_b32_e32 v24, 2
	v_lshlrev_b32_e32 v53, 3, v40
	v_lshlrev_b16 v54, 1, v47
	v_lshrrev_b32_e32 v50, 17, v50
	v_sub_nc_u16 v41, v41, v51
	v_lshlrev_b16 v51, 1, v48
	v_lshlrev_b32_e32 v55, 3, v43
	v_mul_lo_u16 v61, v49, 3
	v_lshlrev_b32_e32 v52, 3, v45
	s_clause 0x2
	global_load_dwordx2 v[69:70], v53, s[2:3]
	global_load_dwordx2 v[67:68], v55, s[2:3]
	;; [unrolled: 1-line block ×3, first 2 shown]
	v_lshlrev_b32_sdwa v52, v24, v54 dst_sel:DWORD dst_unused:UNUSED_PAD src0_sel:DWORD src1_sel:WORD_0
	v_mul_lo_u16 v53, v50, 3
	v_lshlrev_b32_sdwa v51, v24, v51 dst_sel:DWORD dst_unused:UNUSED_PAD src0_sel:DWORD src1_sel:WORD_0
	v_sub_nc_u16 v42, v42, v61
	v_lshlrev_b16 v54, 1, v41
	global_load_dwordx2 v[71:72], v52, s[2:3]
	v_mov_b32_e32 v86, 9
	global_load_dwordx2 v[73:74], v51, s[2:3]
	v_sub_nc_u16 v52, v33, v53
	v_lshlrev_b16 v55, 1, v42
	v_lshlrev_b32_sdwa v33, v24, v54 dst_sel:DWORD dst_unused:UNUSED_PAD src0_sel:DWORD src1_sel:WORD_0
	v_mul_u32_u24_sdwa v34, v34, v86 dst_sel:DWORD dst_unused:UNUSED_PAD src0_sel:WORD_0 src1_sel:DWORD
	v_mul_u32_u24_sdwa v36, v36, v86 dst_sel:DWORD dst_unused:UNUSED_PAD src0_sel:WORD_0 src1_sel:DWORD
	v_lshlrev_b16 v53, 1, v52
	v_lshlrev_b32_sdwa v51, v24, v55 dst_sel:DWORD dst_unused:UNUSED_PAD src0_sel:DWORD src1_sel:WORD_0
	s_clause 0x1
	global_load_dwordx2 v[81:82], v33, s[2:3]
	global_load_dwordx2 v[79:80], v51, s[2:3]
	v_lshlrev_b32_sdwa v33, v24, v53 dst_sel:DWORD dst_unused:UNUSED_PAD src0_sel:DWORD src1_sel:WORD_0
	s_waitcnt lgkmcnt(10)
	v_lshrrev_b32_e32 v51, 16, v10
	s_waitcnt lgkmcnt(9)
	v_lshrrev_b32_e32 v53, 16, v8
	v_mul_u32_u24_sdwa v37, v37, v86 dst_sel:DWORD dst_unused:UNUSED_PAD src0_sel:WORD_0 src1_sel:DWORD
	v_mad_u16 v39, v39, 9, v47
	global_load_dwordx2 v[75:76], v33, s[2:3]
	v_lshrrev_b32_e32 v54, 16, v11
	v_lshrrev_b32_e32 v55, 16, v9
	v_mul_u32_u24_sdwa v35, v35, v86 dst_sel:DWORD dst_unused:UNUSED_PAD src0_sel:WORD_0 src1_sel:DWORD
	v_mad_u16 v41, v46, 9, v41
	v_mad_u16 v42, v49, 9, v42
	s_waitcnt lgkmcnt(7)
	v_lshrrev_b32_e32 v61, 16, v12
	s_waitcnt lgkmcnt(6)
	v_lshrrev_b32_e32 v62, 16, v20
	v_mad_u16 v44, v44, 9, v48
	v_lshrrev_b32_e32 v77, 16, v13
	v_lshrrev_b32_e32 v78, 16, v21
	s_waitcnt lgkmcnt(4)
	v_lshrrev_b32_e32 v83, 16, v18
	s_waitcnt lgkmcnt(3)
	v_lshrrev_b32_e32 v84, 16, v16
	v_lshrrev_b32_e32 v85, 16, v19
	;; [unrolled: 1-line block ×3, first 2 shown]
	s_waitcnt lgkmcnt(1)
	v_lshrrev_b32_e32 v88, 16, v14
	v_lshrrev_b32_e32 v89, 16, v15
	s_waitcnt lgkmcnt(0)
	v_lshrrev_b32_e32 v90, 16, v22
	v_lshrrev_b32_e32 v91, 16, v23
	;; [unrolled: 1-line block ×3, first 2 shown]
	v_add_lshl_u32 v157, v34, v38, 2
	v_add_lshl_u32 v155, v36, v43, 2
	;; [unrolled: 1-line block ×3, first 2 shown]
	v_lshlrev_b32_sdwa v154, v24, v39 dst_sel:DWORD dst_unused:UNUSED_PAD src0_sel:DWORD src1_sel:WORD_0
	v_add_lshl_u32 v156, v35, v40, 2
	v_lshlrev_b32_sdwa v151, v24, v41 dst_sel:DWORD dst_unused:UNUSED_PAD src0_sel:DWORD src1_sel:WORD_0
	v_lshlrev_b32_sdwa v150, v24, v42 dst_sel:DWORD dst_unused:UNUSED_PAD src0_sel:DWORD src1_sel:WORD_0
	;; [unrolled: 1-line block ×3, first 2 shown]
	v_lshrrev_b32_e32 v92, 16, v0
	v_mad_u16 v149, v50, 9, v52
	v_lshrrev_b32_e32 v99, 16, v1
	v_lshrrev_b32_e32 v100, 16, v2
	;; [unrolled: 1-line block ×8, first 2 shown]
	s_waitcnt vmcnt(0)
	s_barrier
	buffer_gl0_inv
	v_mul_f16_sdwa v36, v51, v65 dst_sel:DWORD dst_unused:UNUSED_PAD src0_sel:DWORD src1_sel:WORD_1
	v_mul_f16_sdwa v37, v10, v65 dst_sel:DWORD dst_unused:UNUSED_PAD src0_sel:DWORD src1_sel:WORD_1
	;; [unrolled: 1-line block ×4, first 2 shown]
	v_fma_f16 v10, v10, v65, -v36
	v_fmac_f16_e32 v37, v51, v65
	v_fma_f16 v36, v8, v66, -v38
	v_fmac_f16_e32 v39, v53, v66
	v_mul_f16_sdwa v40, v54, v69 dst_sel:DWORD dst_unused:UNUSED_PAD src0_sel:DWORD src1_sel:WORD_1
	v_mul_f16_sdwa v41, v11, v69 dst_sel:DWORD dst_unused:UNUSED_PAD src0_sel:DWORD src1_sel:WORD_1
	;; [unrolled: 1-line block ×32, first 2 shown]
	v_fma_f16 v11, v11, v69, -v40
	v_fma_f16 v38, v9, v70, -v42
	v_fmac_f16_e32 v41, v54, v69
	v_fmac_f16_e32 v43, v55, v70
	v_fma_f16 v12, v12, v67, -v44
	v_fma_f16 v20, v20, v68, -v46
	v_fmac_f16_e32 v45, v61, v67
	v_fmac_f16_e32 v47, v62, v68
	v_fma_f16 v13, v13, v63, -v48
	v_fma_f16 v21, v21, v64, -v50
	;; [unrolled: 1-line block ×10, first 2 shown]
	v_fmac_f16_e32 v49, v77, v63
	v_fmac_f16_e32 v52, v78, v64
	;; [unrolled: 1-line block ×10, first 2 shown]
	v_fma_f16 v8, v27, v75, -v164
	v_fmac_f16_e32 v35, v32, v75
	v_fma_f16 v9, v26, v76, -v165
	v_fmac_f16_e32 v34, v97, v76
	v_add_f16_e32 v27, v10, v36
	v_sub_f16_e32 v32, v37, v39
	v_add_f16_e32 v40, v92, v37
	v_add_f16_e32 v37, v37, v39
	v_add_f16_e32 v44, v11, v38
	v_sub_f16_e32 v46, v41, v43
	v_add_f16_e32 v48, v99, v41
	v_add_f16_e32 v41, v41, v43
	;; [unrolled: 4-line block ×4, first 2 shown]
	v_sub_f16_e32 v77, v49, v52
	v_add_f16_e32 v49, v49, v52
	v_add_f16_e32 v83, v18, v16
	v_add_f16_e32 v84, v102, v98
	v_add_f16_e32 v85, v98, v108
	v_sub_f16_e32 v86, v98, v108
	v_add_f16_e32 v88, v19, v17
	v_add_f16_e32 v90, v110, v111
	;; [unrolled: 1-line block ×6, first 2 shown]
	v_sub_f16_e32 v109, v158, v162
	v_add_f16_e32 v112, v15, v23
	v_add_f16_e32 v158, v159, v163
	;; [unrolled: 1-line block ×4, first 2 shown]
	v_fmac_f16_e32 v92, -0.5, v37
	v_fma_f16 v0, -0.5, v27, v0
	v_add_f16_e32 v42, v1, v11
	v_sub_f16_e32 v11, v11, v38
	v_fmac_f16_e32 v1, -0.5, v44
	v_fmac_f16_e32 v99, -0.5, v41
	v_add_f16_e32 v50, v2, v12
	v_sub_f16_e32 v12, v12, v20
	v_fmac_f16_e32 v100, -0.5, v45
	v_fma_f16 v2, -0.5, v51, v2
	v_add_f16_e32 v55, v3, v13
	v_sub_f16_e32 v13, v13, v21
	v_add_f16_e32 v78, v6, v18
	v_sub_f16_e32 v18, v18, v16
	v_add_f16_e32 v87, v7, v19
	v_sub_f16_e32 v19, v19, v17
	v_add_f16_e32 v89, v103, v110
	v_sub_f16_e32 v91, v110, v111
	v_sub_f16_e32 v14, v14, v22
	v_add_f16_e32 v110, v5, v15
	v_sub_f16_e32 v15, v15, v23
	v_add_f16_e32 v148, v105, v159
	v_sub_f16_e32 v159, v159, v163
	v_sub_f16_e32 v161, v35, v34
	;; [unrolled: 1-line block ×3, first 2 shown]
	v_add_f16_e32 v26, v26, v36
	v_add_f16_e32 v39, v40, v39
	v_fmac_f16_e32 v3, -0.5, v61
	v_fmac_f16_e32 v101, -0.5, v49
	;; [unrolled: 1-line block ×5, first 2 shown]
	v_add_f16_e32 v22, v97, v22
	v_fmac_f16_e32 v104, -0.5, v107
	v_fmac_f16_e32 v5, -0.5, v112
	;; [unrolled: 1-line block ×3, first 2 shown]
	v_fma_f16 v6, -0.5, v83, v6
	v_fma_f16 v4, -0.5, v98, v4
	;; [unrolled: 1-line block ×4, first 2 shown]
	v_fmamk_f16 v27, v32, 0x3aee, v0
	v_fmac_f16_e32 v0, 0xbaee, v32
	v_fmamk_f16 v32, v10, 0xbaee, v92
	v_fmac_f16_e32 v92, 0x3aee, v10
	v_add_f16_e32 v38, v42, v38
	v_add_f16_e32 v40, v48, v43
	v_fmamk_f16 v10, v46, 0x3aee, v1
	v_fmac_f16_e32 v1, 0xbaee, v46
	v_fmamk_f16 v46, v11, 0xbaee, v99
	v_fmac_f16_e32 v99, 0x3aee, v11
	v_add_f16_e32 v20, v50, v20
	v_add_f16_e32 v41, v54, v47
	v_fmamk_f16 v11, v53, 0x3aee, v2
	v_fmamk_f16 v48, v12, 0xbaee, v100
	v_add_f16_e32 v21, v55, v21
	v_add_f16_e32 v42, v62, v52
	;; [unrolled: 1-line block ×9, first 2 shown]
	v_fmac_f16_e32 v2, 0xbaee, v53
	v_fmac_f16_e32 v100, 0x3aee, v12
	v_fmamk_f16 v12, v77, 0x3aee, v3
	v_fmac_f16_e32 v3, 0xbaee, v77
	v_fmamk_f16 v49, v13, 0xbaee, v101
	v_fmac_f16_e32 v101, 0x3aee, v13
	v_fmamk_f16 v13, v86, 0x3aee, v6
	v_fmac_f16_e32 v6, 0xbaee, v86
	v_fmamk_f16 v50, v18, 0xbaee, v102
	v_fmac_f16_e32 v102, 0x3aee, v18
	v_fmamk_f16 v18, v91, 0x3aee, v7
	v_fmac_f16_e32 v7, 0xbaee, v91
	v_fmamk_f16 v51, v19, 0xbaee, v103
	v_fmac_f16_e32 v103, 0x3aee, v19
	v_fmamk_f16 v19, v109, 0x3aee, v4
	v_fmac_f16_e32 v4, 0xbaee, v109
	v_fmamk_f16 v52, v14, 0xbaee, v104
	v_fmac_f16_e32 v104, 0x3aee, v14
	v_fmamk_f16 v14, v159, 0x3aee, v5
	v_fmac_f16_e32 v5, 0xbaee, v159
	v_fmamk_f16 v53, v15, 0xbaee, v105
	v_fmac_f16_e32 v105, 0x3aee, v15
	v_fmamk_f16 v36, v161, 0x3aee, v37
	v_fmac_f16_e32 v37, 0xbaee, v161
	v_fmamk_f16 v98, v165, 0xbaee, v97
	v_fmac_f16_e32 v97, 0x3aee, v165
	v_pack_b32_f16 v15, v26, v39
	v_pack_b32_f16 v27, v27, v32
	;; [unrolled: 1-line block ×24, first 2 shown]
	ds_write2_b32 v157, v15, v27 offset1:3
	ds_write_b32 v157, v0 offset:24
	ds_write2_b32 v156, v26, v10 offset1:3
	ds_write_b32 v156, v1 offset:24
	ds_write2_b32 v155, v20, v11 offset1:3
	ds_write_b32 v155, v2 offset:24
	ds_write2_b32 v153, v21, v12 offset1:3
	ds_write_b32 v153, v3 offset:24
	ds_write2_b32 v154, v16, v13 offset1:3
	ds_write_b32 v154, v6 offset:24
	ds_write2_b32 v152, v17, v18 offset1:3
	ds_write_b32 v152, v7 offset:24
	ds_write2_b32 v151, v22, v19 offset1:3
	ds_write_b32 v151, v4 offset:24
	ds_write2_b32 v150, v23, v14 offset1:3
	ds_write_b32 v150, v5 offset:24
	s_and_saveexec_b32 s0, vcc_lo
	s_cbranch_execz .LBB0_11
; %bb.10:
	v_add_f16_e32 v0, v33, v35
	v_add_f16_e32 v1, v25, v8
	v_lshlrev_b32_sdwa v2, v24, v149 dst_sel:DWORD dst_unused:UNUSED_PAD src0_sel:DWORD src1_sel:WORD_0
	v_perm_b32 v3, v98, v36, 0x5040100
	v_add_f16_e32 v0, v0, v34
	v_add_f16_e32 v1, v1, v9
	v_pack_b32_f16 v0, v1, v0
	v_perm_b32 v1, v97, v37, 0x5040100
	ds_write2_b32 v2, v0, v3 offset1:3
	ds_write_b32 v2, v1 offset:24
.LBB0_11:
	s_or_b32 exec_lo, exec_lo, s0
	v_mul_lo_u16 v0, v31, 57
	s_waitcnt lgkmcnt(0)
	s_barrier
	buffer_gl0_inv
	v_add_nc_u32_e32 v35, 0x200, v113
	v_lshrrev_b16 v25, 9, v0
	v_mul_lo_u16 v0, v30, 57
	v_add_nc_u32_e32 v46, 0x800, v113
	v_add_nc_u32_e32 v34, 0xc00, v113
	;; [unrolled: 1-line block ×3, first 2 shown]
	v_mul_lo_u16 v1, v25, 9
	v_lshrrev_b16 v26, 9, v0
	v_add_nc_u32_e32 v41, 0xe00, v113
	v_add_nc_u32_e32 v31, 0x400, v113
	;; [unrolled: 1-line block ×3, first 2 shown]
	v_sub_nc_u16 v0, v135, v1
	v_mul_lo_u16 v1, v29, 57
	v_mul_lo_u16 v2, v26, 9
	v_add_nc_u32_e32 v54, 0x1400, v113
	v_add_nc_u32_e32 v47, 0x600, v113
	v_and_b32_e32 v42, 0xff, v0
	v_lshrrev_b16 v27, 9, v1
	v_mul_lo_u16 v1, v28, 57
	v_sub_nc_u16 v0, v96, v2
	v_lshlrev_b32_e32 v2, 4, v42
	v_mul_lo_u16 v3, v27, 9
	v_lshrrev_b16 v33, 9, v1
	v_and_b32_e32 v48, 0xff, v0
	global_load_dwordx4 v[20:23], v2, s[2:3] offset:24
	v_sub_nc_u16 v0, v95, v3
	v_mul_lo_u16 v2, v33, 9
	v_lshlrev_b32_e32 v1, 4, v48
	v_and_b32_e32 v44, 0xff, v0
	v_sub_nc_u16 v0, v94, v2
	global_load_dwordx4 v[16:19], v1, s[2:3] offset:24
	ds_read2_b32 v[2:3], v113 offset1:63
	v_and_b32_e32 v43, 0xff, v0
	v_lshlrev_b32_e32 v0, 4, v43
	global_load_dwordx4 v[8:11], v0, s[2:3] offset:24
	v_mov_b32_e32 v0, 0xe38f
	v_lshlrev_b32_e32 v1, 4, v44
	v_mul_u32_u24_sdwa v0, v93, v0 dst_sel:DWORD dst_unused:UNUSED_PAD src0_sel:WORD_0 src1_sel:DWORD
	global_load_dwordx4 v[12:15], v1, s[2:3] offset:24
	s_waitcnt lgkmcnt(0)
	v_lshrrev_b32_e32 v53, 16, v2
	v_lshrrev_b32_e32 v52, 16, v3
	;; [unrolled: 1-line block ×3, first 2 shown]
	v_mul_lo_u16 v0, v45, 9
	v_sub_nc_u16 v49, v93, v0
	v_lshlrev_b16 v0, 4, v49
	v_and_b32_e32 v0, 0xffff, v0
	v_add_co_u32 v0, s0, s2, v0
	v_add_co_ci_u32_e64 v1, null, s3, 0, s0
	v_cmp_gt_u16_e64 s0, 36, v135
	global_load_dwordx4 v[4:7], v[0:1], off offset:24
	ds_read2_b32 v[0:1], v113 offset0:126 offset1:189
	ds_read_b32 v62, v113 offset:6048
	ds_read2_b32 v[38:39], v35 offset0:124 offset1:187
	ds_read2_b32 v[77:78], v46 offset0:118 offset1:181
	;; [unrolled: 1-line block ×5, first 2 shown]
	v_add_nc_u32_e32 v35, 0x1000, v113
	ds_read2_b32 v[89:90], v41 offset0:112 offset1:175
	ds_read2_b32 v[91:92], v32 offset0:116 offset1:179
	;; [unrolled: 1-line block ×5, first 2 shown]
	s_waitcnt vmcnt(0) lgkmcnt(0)
	s_barrier
	buffer_gl0_inv
	v_lshrrev_b32_e32 v106, 16, v62
	v_lshrrev_b32_e32 v107, 16, v39
	;; [unrolled: 1-line block ×23, first 2 shown]
	v_mul_f16_sdwa v170, v107, v20 dst_sel:DWORD dst_unused:UNUSED_PAD src0_sel:DWORD src1_sel:WORD_1
	v_mul_f16_sdwa v171, v39, v20 dst_sel:DWORD dst_unused:UNUSED_PAD src0_sel:DWORD src1_sel:WORD_1
	;; [unrolled: 1-line block ×16, first 2 shown]
	v_fma_f16 v39, v39, v20, -v170
	v_fmac_f16_e32 v171, v107, v20
	v_fma_f16 v77, v77, v21, -v172
	v_fmac_f16_e32 v173, v108, v21
	;; [unrolled: 2-line block ×3, first 2 shown]
	v_mul_f16_sdwa v194, v163, v8 dst_sel:DWORD dst_unused:UNUSED_PAD src0_sel:DWORD src1_sel:WORD_1
	v_mul_f16_sdwa v40, v102, v8 dst_sel:DWORD dst_unused:UNUSED_PAD src0_sel:DWORD src1_sel:WORD_1
	v_mul_f16_sdwa v41, v92, v9 dst_sel:DWORD dst_unused:UNUSED_PAD src0_sel:DWORD src1_sel:WORD_1
	v_mul_f16_sdwa v55, v104, v10 dst_sel:DWORD dst_unused:UNUSED_PAD src0_sel:DWORD src1_sel:WORD_1
	v_fma_f16 v85, v85, v23, -v176
	v_fmac_f16_e32 v177, v110, v23
	v_mul_f16_sdwa v195, v164, v9 dst_sel:DWORD dst_unused:UNUSED_PAD src0_sel:DWORD src1_sel:WORD_1
	v_mul_f16_sdwa v186, v159, v12 dst_sel:DWORD dst_unused:UNUSED_PAD src0_sel:DWORD src1_sel:WORD_1
	;; [unrolled: 1-line block ×11, first 2 shown]
	v_fma_f16 v87, v87, v16, -v178
	v_fmac_f16_e32 v179, v111, v16
	v_fma_f16 v78, v78, v17, -v180
	v_fmac_f16_e32 v181, v112, v17
	;; [unrolled: 2-line block ×5, first 2 shown]
	v_fmac_f16_e32 v189, v160, v13
	v_fmac_f16_e32 v191, v161, v14
	;; [unrolled: 1-line block ×3, first 2 shown]
	v_fma_f16 v102, v102, v8, -v194
	v_fmac_f16_e32 v40, v163, v8
	v_fmac_f16_e32 v41, v164, v9
	;; [unrolled: 1-line block ×3, first 2 shown]
	v_add_f16_e32 v107, v2, v39
	v_sub_f16_e32 v111, v39, v77
	v_sub_f16_e32 v112, v85, v84
	;; [unrolled: 1-line block ×4, first 2 shown]
	v_add_f16_e32 v161, v173, v175
	v_add_f16_e32 v165, v171, v177
	v_mul_f16_sdwa v192, v162, v15 dst_sel:DWORD dst_unused:UNUSED_PAD src0_sel:DWORD src1_sel:WORD_1
	v_fma_f16 v91, v91, v13, -v188
	v_fma_f16 v90, v90, v14, -v190
	;; [unrolled: 1-line block ×5, first 2 shown]
	v_fmac_f16_e32 v61, v166, v11
	v_add_f16_e32 v108, v77, v84
	v_add_f16_e32 v160, v53, v171
	v_sub_f16_e32 v162, v77, v84
	v_sub_f16_e32 v166, v173, v171
	;; [unrolled: 1-line block ×5, first 2 shown]
	v_add_f16_e32 v188, v52, v179
	v_add_f16_e32 v190, v181, v183
	;; [unrolled: 1-line block ×4, first 2 shown]
	v_sub_f16_e32 v200, v187, v193
	v_add_f16_e32 v207, v51, v187
	v_add_f16_e32 v208, v189, v191
	v_sub_f16_e32 v210, v187, v189
	v_add_f16_e32 v212, v187, v193
	v_sub_f16_e32 v187, v189, v187
	v_sub_f16_e32 v213, v191, v193
	v_add_f16_e32 v214, v1, v102
	v_add_f16_e32 v223, v50, v40
	;; [unrolled: 1-line block ×3, first 2 shown]
	v_mul_f16_sdwa v231, v168, v5 dst_sel:DWORD dst_unused:UNUSED_PAD src0_sel:DWORD src1_sel:WORD_1
	v_mul_f16_sdwa v232, v83, v5 dst_sel:DWORD dst_unused:UNUSED_PAD src0_sel:DWORD src1_sel:WORD_1
	;; [unrolled: 1-line block ×3, first 2 shown]
	v_add_f16_e32 v77, v107, v77
	v_add_f16_e32 v107, v111, v112
	;; [unrolled: 1-line block ×3, first 2 shown]
	v_fma_f16 v159, -0.5, v161, v53
	v_fmac_f16_e32 v53, -0.5, v165
	v_fma_f16 v100, v100, v15, -v192
	v_sub_f16_e32 v109, v171, v177
	v_add_f16_e32 v148, v39, v85
	v_sub_f16_e32 v39, v39, v85
	v_sub_f16_e32 v174, v179, v185
	v_sub_f16_e32 v176, v181, v183
	v_sub_f16_e32 v192, v78, v89
	v_sub_f16_e32 v194, v179, v181
	v_sub_f16_e32 v195, v185, v183
	v_sub_f16_e32 v179, v181, v179
	v_add_f16_e32 v199, v91, v90
	v_sub_f16_e32 v202, v88, v91
	v_sub_f16_e32 v205, v91, v88
	;; [unrolled: 1-line block ×3, first 2 shown]
	v_add_f16_e32 v215, v92, v104
	v_sub_f16_e32 v218, v102, v92
	v_add_f16_e32 v220, v102, v101
	v_sub_f16_e32 v221, v92, v102
	v_sub_f16_e32 v102, v102, v101
	;; [unrolled: 1-line block ×3, first 2 shown]
	v_mul_f16_sdwa v229, v167, v4 dst_sel:DWORD dst_unused:UNUSED_PAD src0_sel:DWORD src1_sel:WORD_1
	v_mul_f16_sdwa v230, v103, v4 dst_sel:DWORD dst_unused:UNUSED_PAD src0_sel:DWORD src1_sel:WORD_1
	;; [unrolled: 1-line block ×4, first 2 shown]
	v_add_f16_e32 v112, v160, v173
	v_add_f16_e32 v160, v166, v170
	;; [unrolled: 1-line block ×4, first 2 shown]
	v_fma_f16 v170, -0.5, v190, v52
	v_fmac_f16_e32 v52, -0.5, v196
	v_add_f16_e32 v91, v198, v91
	v_add_f16_e32 v178, v207, v189
	v_fma_f16 v180, -0.5, v208, v51
	v_fmac_f16_e32 v51, -0.5, v212
	v_fma_f16 v181, -0.5, v108, v2
	v_add_f16_e32 v108, v187, v213
	v_add_f16_e32 v92, v214, v92
	;; [unrolled: 1-line block ×3, first 2 shown]
	v_fma_f16 v188, -0.5, v224, v50
	v_fma_f16 v83, v83, v5, -v231
	v_fma_f16 v105, v105, v6, -v233
	v_fmac_f16_e32 v232, v168, v5
	v_fmamk_f16 v168, v162, 0x3b9c, v53
	v_fmac_f16_e32 v53, 0xbb9c, v162
	v_sub_f16_e32 v110, v173, v175
	v_sub_f16_e32 v163, v171, v173
	v_add_f16_e32 v171, v3, v87
	v_add_f16_e32 v182, v87, v86
	v_sub_f16_e32 v184, v78, v87
	v_sub_f16_e32 v87, v87, v86
	;; [unrolled: 1-line block ×5, first 2 shown]
	v_add_f16_e32 v204, v88, v100
	v_sub_f16_e32 v206, v90, v100
	v_sub_f16_e32 v88, v88, v100
	;; [unrolled: 1-line block ×7, first 2 shown]
	v_add_f16_e32 v228, v40, v61
	v_mul_f16_sdwa v235, v106, v7 dst_sel:DWORD dst_unused:UNUSED_PAD src0_sel:DWORD src1_sel:WORD_1
	v_add_f16_e32 v166, v194, v195
	v_fma_f16 v2, -0.5, v148, v2
	v_fma_f16 v103, v103, v4, -v229
	v_fmac_f16_e32 v230, v167, v4
	v_fmac_f16_e32 v236, v106, v7
	v_add_f16_e32 v77, v77, v84
	v_fmamk_f16 v84, v109, 0x3b9c, v181
	v_fmac_f16_e32 v181, 0xbb9c, v109
	v_fmamk_f16 v167, v39, 0xbb9c, v159
	v_fmac_f16_e32 v159, 0x3b9c, v39
	v_add_f16_e32 v165, v165, v183
	v_fmamk_f16 v183, v192, 0x3b9c, v52
	v_fmac_f16_e32 v52, 0xbb9c, v192
	v_add_f16_e32 v90, v91, v90
	v_add_f16_e32 v178, v178, v191
	v_fmamk_f16 v191, v209, 0x3b9c, v51
	v_fmac_f16_e32 v51, 0xbb9c, v209
	v_add_f16_e32 v92, v92, v104
	v_add_f16_e32 v187, v187, v55
	v_fmamk_f16 v195, v102, 0xbb9c, v188
	v_fmac_f16_e32 v168, 0xb8b4, v39
	v_fmac_f16_e32 v53, 0x38b4, v39
	;; [unrolled: 1-line block ×3, first 2 shown]
	v_sub_f16_e32 v39, v41, v40
	v_sub_f16_e32 v40, v55, v61
	v_add_f16_e32 v41, v83, v105
	v_sub_f16_e32 v164, v177, v175
	v_fmac_f16_e32 v50, -0.5, v228
	v_fmac_f16_e32 v234, v169, v6
	v_fma_f16 v62, v62, v7, -v235
	v_fmamk_f16 v106, v110, 0xbb9c, v2
	v_fmac_f16_e32 v2, 0x3b9c, v110
	v_add_f16_e32 v112, v112, v175
	v_fmamk_f16 v175, v87, 0xbb9c, v170
	v_fmac_f16_e32 v170, 0x3b9c, v87
	v_fmamk_f16 v190, v88, 0xbb9c, v180
	v_fmac_f16_e32 v180, 0x3b9c, v88
	v_fmac_f16_e32 v84, 0x38b4, v110
	;; [unrolled: 1-line block ×5, first 2 shown]
	v_add_f16_e32 v87, v90, v100
	v_fmac_f16_e32 v191, 0xb8b4, v88
	v_fmac_f16_e32 v51, 0x38b4, v88
	v_add_f16_e32 v88, v92, v101
	v_add_f16_e32 v92, v187, v61
	v_fmac_f16_e32 v195, 0xb8b4, v225
	v_add_f16_e32 v100, v226, v227
	v_fmac_f16_e32 v188, 0x38b4, v225
	v_add_f16_e32 v55, v39, v40
	v_add_f16_e32 v40, v38, v103
	v_fma_f16 v39, -0.5, v41, v38
	v_sub_f16_e32 v61, v230, v236
	v_sub_f16_e32 v219, v101, v104
	;; [unrolled: 1-line block ×3, first 2 shown]
	v_fmac_f16_e32 v106, 0x38b4, v109
	v_fmac_f16_e32 v2, 0xb8b4, v109
	;; [unrolled: 1-line block ×6, first 2 shown]
	v_fmamk_f16 v101, v225, 0x3b9c, v50
	v_fmac_f16_e32 v195, 0x34f2, v100
	v_fmac_f16_e32 v188, 0x34f2, v100
	;; [unrolled: 1-line block ×3, first 2 shown]
	v_add_f16_e32 v41, v40, v83
	v_fmamk_f16 v40, v61, 0x3b9c, v39
	v_sub_f16_e32 v100, v232, v234
	v_sub_f16_e32 v107, v103, v83
	v_sub_f16_e32 v108, v62, v105
	v_add_f16_e32 v109, v103, v62
	v_fmac_f16_e32 v39, 0xbb9c, v61
	v_fmac_f16_e32 v101, 0xb8b4, v102
	;; [unrolled: 1-line block ×3, first 2 shown]
	v_add_f16_e32 v41, v41, v105
	v_fmac_f16_e32 v40, 0x38b4, v100
	v_add_f16_e32 v102, v107, v108
	v_fmac_f16_e32 v38, -0.5, v109
	v_sub_f16_e32 v107, v83, v103
	v_sub_f16_e32 v108, v105, v62
	v_fmac_f16_e32 v39, 0xb8b4, v100
	v_add_f16_e32 v109, v99, v230
	v_add_f16_e32 v110, v232, v234
	v_fmac_f16_e32 v101, 0x34f2, v55
	v_fmac_f16_e32 v50, 0x34f2, v55
	v_add_f16_e32 v55, v41, v62
	v_fmac_f16_e32 v40, 0x34f2, v102
	v_fmamk_f16 v41, v100, 0xbb9c, v38
	v_add_f16_e32 v108, v107, v108
	v_fmac_f16_e32 v38, 0x3b9c, v100
	v_add_f16_e32 v100, v109, v232
	v_fma_f16 v107, -0.5, v110, v99
	v_sub_f16_e32 v62, v103, v62
	v_fmac_f16_e32 v39, 0x34f2, v102
	v_add_f16_e32 v102, v230, v236
	v_add_f16_e32 v172, v78, v89
	v_fmac_f16_e32 v41, 0x38b4, v61
	v_fmac_f16_e32 v38, 0xb8b4, v61
	v_add_f16_e32 v61, v100, v234
	v_fmamk_f16 v100, v62, 0xbb9c, v107
	v_sub_f16_e32 v83, v83, v105
	v_fmac_f16_e32 v99, -0.5, v102
	v_fmac_f16_e32 v107, 0x3b9c, v62
	v_add_f16_e32 v158, v163, v164
	v_add_f16_e32 v78, v171, v78
	v_fma_f16 v163, -0.5, v172, v3
	v_fmac_f16_e32 v3, -0.5, v182
	v_fmac_f16_e32 v167, 0xb8b4, v162
	v_fmac_f16_e32 v41, 0x34f2, v108
	;; [unrolled: 1-line block ×4, first 2 shown]
	v_fmamk_f16 v108, v83, 0x3b9c, v99
	v_fmac_f16_e32 v99, 0xbb9c, v83
	v_fmac_f16_e32 v107, 0x38b4, v83
	v_mov_b32_e32 v83, 45
	v_sub_f16_e32 v186, v89, v86
	v_fma_f16 v148, -0.5, v199, v0
	v_add_f16_e32 v78, v78, v89
	v_fmamk_f16 v89, v174, 0x3b9c, v163
	v_fma_f16 v0, -0.5, v204, v0
	v_fmamk_f16 v169, v176, 0xbb9c, v3
	v_fmac_f16_e32 v3, 0x3b9c, v176
	v_fmac_f16_e32 v163, 0xbb9c, v174
	v_fma_f16 v182, -0.5, v215, v1
	v_add_f16_e32 v77, v77, v85
	v_add_f16_e32 v85, v112, v177
	v_fmac_f16_e32 v159, 0x38b4, v162
	v_fmac_f16_e32 v167, 0x34f2, v158
	v_mul_u32_u24_sdwa v25, v25, v83 dst_sel:DWORD dst_unused:UNUSED_PAD src0_sel:WORD_0 src1_sel:DWORD
	v_fmamk_f16 v91, v200, 0x3b9c, v148
	v_fmac_f16_e32 v89, 0x38b4, v176
	v_fmac_f16_e32 v175, 0xb8b4, v192
	;; [unrolled: 1-line block ×6, first 2 shown]
	v_add_f16_e32 v164, v184, v186
	v_add_f16_e32 v171, v179, v197
	v_fmamk_f16 v189, v201, 0xbb9c, v0
	v_fmac_f16_e32 v0, 0x3b9c, v201
	v_fmac_f16_e32 v169, 0x38b4, v174
	v_fmac_f16_e32 v3, 0xb8b4, v174
	v_fmac_f16_e32 v148, 0xbb9c, v200
	v_fmac_f16_e32 v163, 0xb8b4, v176
	v_fmac_f16_e32 v170, 0x38b4, v192
	v_fmac_f16_e32 v1, -0.5, v220
	v_fmamk_f16 v104, v216, 0x3b9c, v182
	v_fmac_f16_e32 v159, 0x34f2, v158
	v_add_lshl_u32 v158, v25, v42, 2
	v_pack_b32_f16 v25, v77, v85
	v_pack_b32_f16 v42, v84, v167
	v_add_f16_e32 v172, v202, v203
	v_add_f16_e32 v179, v210, v211
	;; [unrolled: 1-line block ×4, first 2 shown]
	v_fmac_f16_e32 v91, 0x38b4, v201
	v_fmac_f16_e32 v190, 0xb8b4, v209
	;; [unrolled: 1-line block ×6, first 2 shown]
	v_pack_b32_f16 v62, v106, v168
	v_pack_b32_f16 v2, v2, v53
	v_mul_u32_u24_sdwa v26, v26, v83 dst_sel:DWORD dst_unused:UNUSED_PAD src0_sel:WORD_0 src1_sel:DWORD
	v_add_f16_e32 v173, v205, v206
	v_fmac_f16_e32 v189, 0x38b4, v200
	v_fmac_f16_e32 v0, 0xb8b4, v200
	;; [unrolled: 1-line block ×6, first 2 shown]
	v_sub_f16_e32 v103, v230, v232
	v_sub_f16_e32 v105, v236, v234
	v_fmac_f16_e32 v148, 0xb8b4, v201
	v_fmac_f16_e32 v180, 0x38b4, v209
	;; [unrolled: 1-line block ×4, first 2 shown]
	v_fmamk_f16 v194, v217, 0xbb9c, v1
	v_fmac_f16_e32 v1, 0x3b9c, v217
	v_add_f16_e32 v184, v218, v219
	v_fmac_f16_e32 v182, 0xbb9c, v216
	v_fmac_f16_e32 v104, 0x38b4, v217
	ds_write2_b32 v158, v25, v42 offset1:9
	ds_write2_b32 v158, v62, v2 offset0:18 offset1:27
	v_pack_b32_f16 v2, v181, v159
	v_add_f16_e32 v90, v178, v193
	v_fmac_f16_e32 v91, 0x34f2, v172
	v_fmac_f16_e32 v190, 0x34f2, v179
	v_add_lshl_u32 v159, v26, v48, 2
	v_pack_b32_f16 v25, v78, v86
	v_pack_b32_f16 v26, v89, v175
	v_mul_u32_u24_sdwa v27, v27, v83 dst_sel:DWORD dst_unused:UNUSED_PAD src0_sel:WORD_0 src1_sel:DWORD
	v_fmac_f16_e32 v189, 0x34f2, v173
	v_fmac_f16_e32 v0, 0x34f2, v173
	v_add_f16_e32 v102, v103, v105
	v_sub_f16_e32 v103, v232, v230
	v_sub_f16_e32 v105, v234, v236
	v_pack_b32_f16 v42, v169, v183
	v_pack_b32_f16 v3, v3, v52
	v_fmac_f16_e32 v148, 0x34f2, v172
	v_fmac_f16_e32 v180, 0x34f2, v179
	v_pack_b32_f16 v48, v163, v170
	v_add_f16_e32 v186, v221, v222
	v_fmac_f16_e32 v194, 0x38b4, v216
	v_fmac_f16_e32 v1, 0xb8b4, v216
	;; [unrolled: 1-line block ×4, first 2 shown]
	ds_write_b32 v158, v2 offset:144
	ds_write2_b32 v159, v25, v26 offset1:9
	ds_write2_b32 v159, v42, v3 offset0:18 offset1:27
	ds_write_b32 v159, v48 offset:144
	v_mul_u32_u24_sdwa v3, v33, v83 dst_sel:DWORD dst_unused:UNUSED_PAD src0_sel:WORD_0 src1_sel:DWORD
	v_add_lshl_u32 v161, v27, v44, 2
	v_pack_b32_f16 v2, v87, v90
	v_pack_b32_f16 v25, v91, v190
	v_add_f16_e32 v103, v103, v105
	v_pack_b32_f16 v26, v189, v191
	v_pack_b32_f16 v0, v0, v51
	;; [unrolled: 1-line block ×3, first 2 shown]
	v_fmac_f16_e32 v194, 0x34f2, v186
	v_fmac_f16_e32 v1, 0x34f2, v186
	;; [unrolled: 1-line block ×3, first 2 shown]
	v_add_lshl_u32 v160, v3, v43, 2
	v_pack_b32_f16 v3, v88, v92
	v_pack_b32_f16 v33, v104, v195
	v_add_f16_e32 v61, v61, v236
	v_fmac_f16_e32 v100, 0x34f2, v102
	ds_write2_b32 v161, v2, v25 offset1:9
	ds_write2_b32 v161, v26, v0 offset0:18 offset1:27
	ds_write_b32 v161, v27 offset:144
	v_mad_u16 v0, v45, 45, v49
	v_fmac_f16_e32 v108, 0x34f2, v103
	v_fmac_f16_e32 v99, 0x34f2, v103
	;; [unrolled: 1-line block ×3, first 2 shown]
	v_pack_b32_f16 v2, v194, v101
	v_pack_b32_f16 v1, v1, v50
	ds_write2_b32 v160, v3, v33 offset1:9
	v_pack_b32_f16 v3, v182, v188
	v_lshlrev_b32_sdwa v162, v24, v0 dst_sel:DWORD dst_unused:UNUSED_PAD src0_sel:DWORD src1_sel:WORD_0
	v_pack_b32_f16 v0, v55, v61
	v_pack_b32_f16 v24, v40, v100
	v_pack_b32_f16 v25, v41, v108
	v_pack_b32_f16 v26, v38, v99
	v_pack_b32_f16 v27, v39, v107
	ds_write2_b32 v160, v2, v1 offset0:18 offset1:27
	ds_write_b32 v160, v3 offset:144
	ds_write2_b32 v162, v0, v24 offset1:9
	ds_write2_b32 v162, v25, v26 offset0:18 offset1:27
	ds_write_b32 v162, v27 offset:144
	s_waitcnt lgkmcnt(0)
	s_barrier
	buffer_gl0_inv
	ds_read2_b32 v[44:45], v113 offset1:63
	ds_read2_b32 v[42:43], v113 offset0:126 offset1:225
	ds_read2_b32 v[50:51], v47 offset0:66 offset1:129
	;; [unrolled: 1-line block ×9, first 2 shown]
	ds_read_b32 v109, v113 offset:5904
                                        ; implicit-def: $vgpr110
                                        ; implicit-def: $vgpr111
	s_and_saveexec_b32 s1, s0
	s_cbranch_execz .LBB0_13
; %bb.12:
	v_add_nc_u32_e32 v0, 0x280, v113
	v_add_nc_u32_e32 v1, 0x9c0, v113
	;; [unrolled: 1-line block ×3, first 2 shown]
	ds_read2_b32 v[40:41], v0 offset0:29 offset1:254
	ds_read2_b32 v[38:39], v1 offset0:15 offset1:240
	;; [unrolled: 1-line block ×3, first 2 shown]
	ds_read_b32 v110, v113 offset:6156
	s_waitcnt lgkmcnt(3)
	v_lshrrev_b32_e32 v100, 16, v40
	v_lshrrev_b32_e32 v108, 16, v41
	s_waitcnt lgkmcnt(2)
	v_lshrrev_b32_e32 v99, 16, v38
	v_lshrrev_b32_e32 v107, 16, v39
	s_waitcnt lgkmcnt(1)
	v_lshrrev_b32_e32 v98, 16, v36
	v_lshrrev_b32_e32 v97, 16, v37
	s_waitcnt lgkmcnt(0)
	v_lshrrev_b32_e32 v111, 16, v110
.LBB0_13:
	s_or_b32 exec_lo, exec_lo, s1
	v_subrev_nc_u32_e32 v0, 45, v135
	v_cmp_gt_u16_e64 s1, 45, v135
	v_mul_lo_u16 v2, 0x6d, v29
	v_mul_lo_u16 v28, 0x6d, v28
	s_waitcnt lgkmcnt(9)
	v_lshrrev_b32_e32 v112, 16, v43
	s_waitcnt lgkmcnt(8)
	v_lshrrev_b32_e32 v163, 16, v50
	v_cndmask_b32_e64 v101, v0, v135, s1
	v_lshrrev_b16 v2, 8, v2
	s_waitcnt lgkmcnt(5)
	v_lshrrev_b32_e32 v166, 16, v49
	s_waitcnt lgkmcnt(4)
	v_lshrrev_b32_e32 v167, 16, v89
	v_lshrrev_b32_e32 v164, 16, v47
	v_mul_i32_i24_e32 v0, 24, v101
	v_mul_hi_i32_i24_e32 v1, 24, v101
	v_sub_nc_u16 v3, v95, v2
	v_lshrrev_b32_e32 v165, 16, v52
	s_waitcnt lgkmcnt(3)
	v_lshrrev_b32_e32 v168, 16, v91
	v_add_co_u32 v0, s1, s2, v0
	v_add_co_ci_u32_e64 v1, s1, s3, v1, s1
	v_lshrrev_b32_e32 v169, 16, v51
	s_waitcnt lgkmcnt(2)
	v_lshrrev_b32_e32 v170, 16, v61
	s_clause 0x1
	global_load_dwordx4 v[24:27], v[0:1], off offset:168
	global_load_dwordx2 v[83:84], v[0:1], off offset:184
	v_mul_lo_u16 v0, 0x6d, v30
	v_lshrrev_b32_e32 v171, 16, v53
	s_waitcnt lgkmcnt(1)
	v_lshrrev_b32_e32 v172, 16, v54
	v_lshrrev_b32_e32 v173, 16, v90
	;; [unrolled: 1-line block ×3, first 2 shown]
	v_lshrrev_b16 v0, 8, v0
	v_lshrrev_b32_e32 v175, 16, v46
	v_lshrrev_b32_e32 v178, 16, v55
	s_waitcnt lgkmcnt(0)
	v_lshrrev_b32_e32 v179, 16, v109
	v_lshrrev_b32_e32 v176, 16, v62
	v_sub_nc_u16 v1, v96, v0
	v_lshrrev_b32_e32 v177, 16, v48
	v_cmp_lt_u16_e64 s1, 44, v135
	v_lshrrev_b16 v1, 1, v1
	v_and_b32_e32 v1, 0x7f, v1
	v_add_nc_u16 v0, v1, v0
	v_lshrrev_b16 v1, 1, v3
	v_lshrrev_b16 v3, 8, v28
	;; [unrolled: 1-line block ×3, first 2 shown]
	v_and_b32_e32 v0, 0x7f, v1
	v_sub_nc_u16 v1, v94, v3
	v_mul_lo_u16 v28, v105, 45
	v_add_nc_u16 v0, v0, v2
	v_lshrrev_b16 v1, 1, v1
	v_sub_nc_u16 v2, v96, v28
	v_lshrrev_b16 v103, 5, v0
	v_and_b32_e32 v0, 0x7f, v1
	v_and_b32_e32 v106, 0xff, v2
	v_mul_lo_u16 v2, v103, 45
	v_add_nc_u16 v3, v0, v3
	v_mad_u64_u32 v[0:1], null, v106, 24, s[2:3]
	v_lshrrev_b16 v3, 5, v3
	v_sub_nc_u16 v2, v95, v2
	v_mul_lo_u16 v28, v3, 45
	v_and_b32_e32 v104, 0xff, v2
	s_clause 0x1
	global_load_dwordx4 v[32:35], v[0:1], off offset:168
	global_load_dwordx2 v[87:88], v[0:1], off offset:184
	v_sub_nc_u16 v148, v94, v28
	v_mad_u64_u32 v[2:3], null, v104, 24, s[2:3]
	v_and_b32_e32 v102, 0xff, v148
	global_load_dwordx4 v[28:31], v[2:3], off offset:168
	v_mad_u64_u32 v[77:78], null, v102, 24, s[2:3]
	s_clause 0x2
	global_load_dwordx2 v[85:86], v[2:3], off offset:184
	global_load_dwordx4 v[0:3], v[77:78], off offset:168
	global_load_dwordx2 v[77:78], v[77:78], off offset:184
	s_waitcnt vmcnt(0)
	s_barrier
	buffer_gl0_inv
	v_mul_f16_sdwa v180, v112, v24 dst_sel:DWORD dst_unused:UNUSED_PAD src0_sel:DWORD src1_sel:WORD_1
	v_mul_f16_sdwa v181, v43, v24 dst_sel:DWORD dst_unused:UNUSED_PAD src0_sel:DWORD src1_sel:WORD_1
	v_mul_f16_sdwa v182, v163, v25 dst_sel:DWORD dst_unused:UNUSED_PAD src0_sel:DWORD src1_sel:WORD_1
	v_mul_f16_sdwa v183, v50, v25 dst_sel:DWORD dst_unused:UNUSED_PAD src0_sel:DWORD src1_sel:WORD_1
	v_mul_f16_sdwa v188, v166, v83 dst_sel:DWORD dst_unused:UNUSED_PAD src0_sel:DWORD src1_sel:WORD_1
	v_mul_f16_sdwa v189, v49, v83 dst_sel:DWORD dst_unused:UNUSED_PAD src0_sel:DWORD src1_sel:WORD_1
	v_mul_f16_sdwa v190, v167, v84 dst_sel:DWORD dst_unused:UNUSED_PAD src0_sel:DWORD src1_sel:WORD_1
	v_mul_f16_sdwa v191, v89, v84 dst_sel:DWORD dst_unused:UNUSED_PAD src0_sel:DWORD src1_sel:WORD_1
	v_mul_f16_sdwa v184, v164, v26 dst_sel:DWORD dst_unused:UNUSED_PAD src0_sel:DWORD src1_sel:WORD_1
	v_mul_f16_sdwa v185, v47, v26 dst_sel:DWORD dst_unused:UNUSED_PAD src0_sel:DWORD src1_sel:WORD_1
	v_mul_f16_sdwa v186, v165, v27 dst_sel:DWORD dst_unused:UNUSED_PAD src0_sel:DWORD src1_sel:WORD_1
	v_mul_f16_sdwa v187, v52, v27 dst_sel:DWORD dst_unused:UNUSED_PAD src0_sel:DWORD src1_sel:WORD_1
	v_fma_f16 v43, v43, v24, -v180
	v_fmac_f16_e32 v181, v112, v24
	v_fma_f16 v50, v50, v25, -v182
	v_fmac_f16_e32 v183, v163, v25
	;; [unrolled: 2-line block ×6, first 2 shown]
	v_add_f16_e32 v112, v43, v89
	v_add_f16_e32 v163, v181, v191
	;; [unrolled: 1-line block ×4, first 2 shown]
	v_sub_f16_e32 v43, v43, v89
	v_sub_f16_e32 v89, v181, v191
	v_sub_f16_e32 v49, v50, v49
	v_sub_f16_e32 v50, v183, v189
	v_add_f16_e32 v166, v47, v52
	v_add_f16_e32 v167, v185, v187
	v_sub_f16_e32 v47, v52, v47
	v_sub_f16_e32 v52, v187, v185
	v_add_f16_e32 v180, v164, v112
	v_add_f16_e32 v181, v165, v163
	v_sub_f16_e32 v182, v164, v112
	v_sub_f16_e32 v183, v165, v163
	;; [unrolled: 1-line block ×6, first 2 shown]
	v_add_f16_e32 v184, v47, v49
	v_add_f16_e32 v185, v52, v50
	v_sub_f16_e32 v186, v47, v49
	v_sub_f16_e32 v187, v52, v50
	;; [unrolled: 1-line block ×4, first 2 shown]
	v_add_f16_e32 v166, v166, v180
	v_add_f16_e32 v167, v167, v181
	v_sub_f16_e32 v47, v43, v47
	v_sub_f16_e32 v52, v89, v52
	v_add_f16_e32 v180, v184, v43
	v_add_f16_e32 v89, v185, v89
	v_mul_f16_e32 v112, 0x3a52, v112
	v_mul_f16_e32 v163, 0x3a52, v163
	;; [unrolled: 1-line block ×8, first 2 shown]
	v_add_f16_e32 v43, v44, v166
	v_add_f16_sdwa v44, v44, v167 dst_sel:DWORD dst_unused:UNUSED_PAD src0_sel:WORD_1 src1_sel:DWORD
	v_fmamk_f16 v164, v164, 0x2b26, v112
	v_fmamk_f16 v165, v165, 0x2b26, v163
	v_fma_f16 v181, v182, 0x39e0, -v181
	v_fma_f16 v184, v183, 0x39e0, -v184
	;; [unrolled: 1-line block ×4, first 2 shown]
	v_fmamk_f16 v182, v47, 0x3574, v185
	v_fmamk_f16 v183, v52, 0x3574, v186
	v_fma_f16 v49, v49, 0x3b00, -v185
	v_fma_f16 v50, v50, 0x3b00, -v186
	;; [unrolled: 1-line block ×4, first 2 shown]
	v_fmamk_f16 v166, v166, 0xbcab, v43
	v_fmamk_f16 v167, v167, 0xbcab, v44
	v_fmac_f16_e32 v182, 0x370e, v180
	v_fmac_f16_e32 v183, 0x370e, v89
	v_fmac_f16_e32 v49, 0x370e, v180
	v_fmac_f16_e32 v50, 0x370e, v89
	v_fmac_f16_e32 v47, 0x370e, v180
	v_fmac_f16_e32 v52, 0x370e, v89
	v_add_f16_e32 v89, v164, v166
	v_add_f16_e32 v164, v165, v167
	;; [unrolled: 1-line block ×6, first 2 shown]
	v_mul_f16_sdwa v166, v168, v32 dst_sel:DWORD dst_unused:UNUSED_PAD src0_sel:DWORD src1_sel:WORD_1
	v_mul_f16_sdwa v167, v91, v32 dst_sel:DWORD dst_unused:UNUSED_PAD src0_sel:DWORD src1_sel:WORD_1
	;; [unrolled: 1-line block ×31, first 2 shown]
	v_add_f16_e32 v219, v52, v112
	v_sub_f16_e32 v220, v163, v47
	v_sub_f16_e32 v221, v165, v50
	v_add_f16_e32 v222, v49, v180
	v_add_f16_e32 v223, v50, v165
	v_sub_f16_e32 v180, v180, v49
	v_sub_f16_e32 v52, v112, v52
	v_add_f16_e32 v112, v47, v163
	v_fma_f16 v47, v91, v32, -v166
	v_fmac_f16_e32 v167, v168, v32
	v_fma_f16 v49, v51, v33, -v181
	v_fmac_f16_e32 v184, v169, v33
	;; [unrolled: 2-line block ×10, first 2 shown]
	v_mul_f16_sdwa v205, v108, v0 dst_sel:DWORD dst_unused:UNUSED_PAD src0_sel:DWORD src1_sel:WORD_1
	v_mul_f16_sdwa v207, v99, v1 dst_sel:DWORD dst_unused:UNUSED_PAD src0_sel:DWORD src1_sel:WORD_1
	;; [unrolled: 1-line block ×5, first 2 shown]
	v_fma_f16 v62, v62, v30, -v197
	v_fmac_f16_e32 v198, v176, v30
	v_fma_f16 v48, v48, v31, -v199
	v_fmac_f16_e32 v200, v177, v31
	v_fmac_f16_e32 v206, v108, v0
	;; [unrolled: 1-line block ×6, first 2 shown]
	v_fma_f16 v91, v110, v78, -v215
	v_fmac_f16_e32 v216, v111, v78
	v_add_f16_e32 v92, v47, v54
	v_add_f16_e32 v97, v167, v192
	v_sub_f16_e32 v47, v47, v54
	v_sub_f16_e32 v54, v167, v192
	v_add_f16_e32 v98, v49, v53
	v_add_f16_e32 v99, v184, v190
	v_sub_f16_e32 v49, v49, v53
	v_sub_f16_e32 v53, v184, v190
	;; [unrolled: 4-line block ×3, first 2 shown]
	v_add_f16_e32 v109, v61, v90
	v_add_f16_e32 v110, v194, v204
	;; [unrolled: 1-line block ×5, first 2 shown]
	v_sub_f16_e32 v218, v164, v182
	v_sub_f16_e32 v89, v89, v183
	v_add_f16_e32 v182, v182, v164
	v_sub_f16_e32 v61, v61, v90
	v_sub_f16_e32 v90, v194, v204
	;; [unrolled: 1-line block ×4, first 2 shown]
	v_add_f16_e32 v164, v62, v48
	v_add_f16_e32 v165, v198, v200
	v_sub_f16_e32 v48, v48, v62
	v_sub_f16_e32 v62, v200, v198
	v_add_f16_e32 v172, v98, v92
	v_add_f16_e32 v173, v99, v97
	v_sub_f16_e32 v174, v98, v92
	v_sub_f16_e32 v175, v99, v97
	;; [unrolled: 1-line block ×6, first 2 shown]
	v_add_f16_e32 v176, v50, v49
	v_add_f16_e32 v177, v51, v53
	v_sub_f16_e32 v178, v50, v49
	v_sub_f16_e32 v179, v51, v53
	;; [unrolled: 1-line block ×4, first 2 shown]
	v_add_f16_e32 v181, v111, v109
	v_add_f16_e32 v183, v163, v110
	v_sub_f16_e32 v50, v47, v50
	v_sub_f16_e32 v51, v54, v51
	;; [unrolled: 1-line block ×8, first 2 shown]
	v_add_f16_e32 v186, v48, v46
	v_add_f16_e32 v187, v62, v55
	v_sub_f16_e32 v188, v48, v46
	v_sub_f16_e32 v189, v62, v55
	;; [unrolled: 1-line block ×4, first 2 shown]
	v_add_f16_e32 v107, v107, v172
	v_add_f16_e32 v108, v108, v173
	;; [unrolled: 1-line block ×4, first 2 shown]
	v_mul_f16_e32 v92, 0x3a52, v92
	v_mul_f16_e32 v97, 0x3a52, v97
	;; [unrolled: 1-line block ×8, first 2 shown]
	v_add_f16_e32 v164, v164, v181
	v_add_f16_e32 v165, v165, v183
	v_sub_f16_e32 v48, v61, v48
	v_sub_f16_e32 v62, v90, v62
	v_add_f16_e32 v61, v186, v61
	v_add_f16_e32 v90, v187, v90
	v_mul_f16_e32 v109, 0x3a52, v109
	v_mul_f16_e32 v110, 0x3a52, v110
	v_mul_f16_e32 v181, 0x2b26, v111
	v_mul_f16_e32 v183, 0x2b26, v163
	v_mul_f16_e32 v186, 0xb846, v188
	v_mul_f16_e32 v187, 0xb846, v189
	v_mul_f16_e32 v188, 0x3b00, v46
	v_mul_f16_e32 v189, 0x3b00, v55
	v_add_f16_e32 v190, v45, v107
	v_add_f16_sdwa v191, v45, v108 dst_sel:DWORD dst_unused:UNUSED_PAD src0_sel:WORD_1 src1_sel:DWORD
	v_fmamk_f16 v45, v98, 0x2b26, v92
	v_fmamk_f16 v98, v99, 0x2b26, v97
	v_fma_f16 v99, v174, 0x39e0, -v172
	v_fma_f16 v172, v175, 0x39e0, -v173
	;; [unrolled: 1-line block ×4, first 2 shown]
	v_fmamk_f16 v173, v50, 0x3574, v176
	v_fmamk_f16 v174, v51, 0x3574, v177
	v_fma_f16 v49, v49, 0x3b00, -v176
	v_fma_f16 v53, v53, 0x3b00, -v177
	;; [unrolled: 1-line block ×4, first 2 shown]
	v_add_f16_e32 v175, v42, v164
	v_add_f16_sdwa v176, v42, v165 dst_sel:DWORD dst_unused:UNUSED_PAD src0_sel:WORD_1 src1_sel:DWORD
	v_fma_f16 v41, v41, v0, -v205
	v_fma_f16 v38, v38, v1, -v207
	v_fma_f16 v37, v37, v77, -v213
	v_fmamk_f16 v42, v111, 0x2b26, v109
	v_fmamk_f16 v111, v163, 0x2b26, v110
	v_fma_f16 v163, v184, 0x39e0, -v181
	v_fma_f16 v177, v185, 0x39e0, -v183
	v_fmamk_f16 v178, v48, 0x3574, v186
	v_fmamk_f16 v179, v62, 0x3574, v187
	v_fma_f16 v46, v46, 0x3b00, -v186
	v_fma_f16 v55, v55, 0x3b00, -v187
	;; [unrolled: 1-line block ×4, first 2 shown]
	v_fmamk_f16 v107, v107, 0xbcab, v190
	v_fmamk_f16 v108, v108, 0xbcab, v191
	v_fmac_f16_e32 v173, 0x370e, v47
	v_fmac_f16_e32 v174, 0x370e, v54
	v_fmac_f16_e32 v49, 0x370e, v47
	v_fmac_f16_e32 v53, 0x370e, v54
	v_fmac_f16_e32 v50, 0x370e, v47
	v_fmac_f16_e32 v51, 0x370e, v54
	v_fmamk_f16 v47, v164, 0xbcab, v175
	v_fmamk_f16 v54, v165, 0xbcab, v176
	v_fma_f16 v39, v39, v2, -v209
	v_fma_f16 v36, v36, v3, -v211
	v_add_f16_e32 v166, v41, v91
	v_add_f16_e32 v167, v206, v216
	;; [unrolled: 1-line block ×4, first 2 shown]
	v_fma_f16 v109, v184, 0xb9e0, -v109
	v_fma_f16 v110, v185, 0xb9e0, -v110
	v_fmac_f16_e32 v178, 0x370e, v61
	v_fmac_f16_e32 v179, 0x370e, v90
	;; [unrolled: 1-line block ×6, first 2 shown]
	v_add_f16_e32 v45, v45, v107
	v_add_f16_e32 v61, v98, v108
	;; [unrolled: 1-line block ×9, first 2 shown]
	v_sub_f16_e32 v41, v41, v91
	v_sub_f16_e32 v91, v206, v216
	v_sub_f16_e32 v37, v38, v37
	v_sub_f16_e32 v38, v208, v214
	v_add_f16_e32 v170, v39, v36
	v_add_f16_e32 v171, v210, v212
	v_sub_f16_e32 v36, v36, v39
	v_sub_f16_e32 v39, v212, v210
	v_add_f16_e32 v99, v111, v54
	v_add_f16_e32 v47, v109, v47
	;; [unrolled: 1-line block ×4, first 2 shown]
	v_sub_f16_e32 v110, v61, v173
	v_sub_f16_e32 v177, v90, v53
	v_add_f16_e32 v181, v49, v98
	v_add_f16_e32 v53, v53, v90
	v_sub_f16_e32 v90, v98, v49
	v_sub_f16_e32 v98, v45, v174
	v_add_f16_e32 v61, v173, v61
	v_add_f16_e32 v173, v179, v42
	v_sub_f16_e32 v185, v107, v55
	v_add_f16_e32 v186, v46, v108
	v_add_f16_e32 v55, v55, v107
	v_sub_f16_e32 v107, v108, v46
	v_sub_f16_e32 v108, v42, v179
	v_add_f16_e32 v42, v168, v166
	v_add_f16_e32 v45, v169, v167
	v_sub_f16_e32 v172, v97, v50
	v_add_f16_e32 v97, v50, v97
	v_sub_f16_e32 v184, v54, v48
	;; [unrolled: 2-line block ×3, first 2 shown]
	v_sub_f16_e32 v48, v166, v170
	v_sub_f16_e32 v49, v167, v171
	;; [unrolled: 1-line block ×3, first 2 shown]
	v_add_f16_e32 v163, v36, v37
	v_add_f16_e32 v164, v39, v38
	v_sub_f16_e32 v165, v36, v37
	v_sub_f16_e32 v166, v39, v38
	;; [unrolled: 1-line block ×3, first 2 shown]
	v_add_f16_e32 v39, v170, v42
	v_add_f16_e32 v42, v171, v45
	v_sub_f16_e32 v38, v38, v91
	v_add_f16_e32 v111, v51, v92
	v_sub_f16_e32 v92, v92, v51
	;; [unrolled: 2-line block ×3, first 2 shown]
	v_sub_f16_e32 v47, v169, v167
	v_sub_f16_e32 v51, v171, v169
	;; [unrolled: 1-line block ×4, first 2 shown]
	v_add_f16_e32 v163, v163, v41
	v_add_f16_e32 v36, v40, v39
	;; [unrolled: 1-line block ×3, first 2 shown]
	v_mul_f16_e32 v40, 0x3a52, v48
	v_mul_f16_e32 v41, 0x3a52, v49
	;; [unrolled: 1-line block ×5, first 2 shown]
	v_sub_f16_e32 v174, v99, v178
	v_add_f16_e32 v99, v178, v99
	v_add_f16_e32 v91, v164, v91
	v_mul_f16_e32 v45, 0x2b26, v50
	v_fmamk_f16 v170, v42, 0xbcab, v37
	v_fmamk_f16 v42, v50, 0x2b26, v40
	;; [unrolled: 1-line block ×3, first 2 shown]
	v_fma_f16 v178, v46, 0xb9e0, -v40
	v_fma_f16 v179, v47, 0xb9e0, -v41
	v_fmamk_f16 v40, v168, 0x3574, v100
	v_fma_f16 v38, v38, 0x3b00, -v100
	v_fma_f16 v41, v168, 0xb574, -v165
	v_mul_f16_e32 v48, 0x2b26, v51
	v_fmamk_f16 v166, v39, 0xbcab, v36
	v_fmac_f16_e32 v40, 0x370e, v91
	v_fmac_f16_e32 v38, 0x370e, v91
	;; [unrolled: 1-line block ×3, first 2 shown]
	v_cndmask_b32_e64 v91, 0, 0x13b, s1
	v_fma_f16 v51, v46, 0x39e0, -v45
	v_mul_f16_e32 v164, 0x3b00, v169
	v_pack_b32_f16 v43, v43, v44
	v_pack_b32_f16 v44, v217, v218
	v_add_lshl_u32 v165, v101, v91, 2
	v_mov_b32_e32 v100, 0x13b
	v_pack_b32_f16 v91, v219, v220
	v_pack_b32_f16 v101, v221, v222
	v_fmamk_f16 v39, v167, 0x3574, v49
	v_fma_f16 v46, v169, 0x3b00, -v49
	v_add_f16_e32 v45, v42, v166
	v_add_f16_e32 v42, v51, v166
	;; [unrolled: 1-line block ×3, first 2 shown]
	v_pack_b32_f16 v166, v223, v180
	v_pack_b32_f16 v52, v52, v112
	v_fma_f16 v171, v47, 0x39e0, -v48
	v_fma_f16 v47, v167, 0xb574, -v164
	v_mul_u32_u24_sdwa v105, v105, v100 dst_sel:DWORD dst_unused:UNUSED_PAD src0_sel:WORD_0 src1_sel:DWORD
	ds_write2_b32 v165, v43, v44 offset1:45
	ds_write2_b32 v165, v91, v101 offset0:90 offset1:135
	ds_write2_b32 v165, v166, v52 offset0:180 offset1:225
	v_pack_b32_f16 v43, v89, v182
	v_add_f16_e32 v48, v50, v170
	v_add_f16_e32 v50, v171, v170
	;; [unrolled: 1-line block ×3, first 2 shown]
	v_fmac_f16_e32 v39, 0x370e, v163
	v_fmac_f16_e32 v46, 0x370e, v163
	;; [unrolled: 1-line block ×3, first 2 shown]
	v_add_lshl_u32 v166, v105, v106, 2
	v_pack_b32_f16 v44, v190, v191
	v_pack_b32_f16 v52, v109, v110
	ds_write_b32 v165, v43 offset:1080
	v_mul_u32_u24_sdwa v43, v103, v100 dst_sel:DWORD dst_unused:UNUSED_PAD src0_sel:WORD_0 src1_sel:DWORD
	v_pack_b32_f16 v89, v111, v172
	v_pack_b32_f16 v91, v177, v181
	;; [unrolled: 1-line block ×4, first 2 shown]
	v_add_f16_e32 v168, v38, v42
	v_sub_f16_e32 v171, v50, v46
	v_sub_f16_e32 v169, v49, v41
	v_add_f16_e32 v170, v47, v51
	v_sub_f16_e32 v163, v45, v40
	v_add_f16_e32 v164, v39, v48
	ds_write2_b32 v166, v44, v52 offset1:45
	ds_write2_b32 v166, v89, v91 offset0:90 offset1:135
	ds_write2_b32 v166, v53, v90 offset0:180 offset1:225
	v_pack_b32_f16 v44, v98, v61
	v_add_lshl_u32 v167, v43, v104, 2
	v_pack_b32_f16 v43, v175, v176
	v_pack_b32_f16 v52, v173, v174
	;; [unrolled: 1-line block ×7, first 2 shown]
	ds_write_b32 v166, v44 offset:1080
	ds_write2_b32 v167, v43, v52 offset1:45
	ds_write2_b32 v167, v53, v61 offset0:90 offset1:135
	ds_write2_b32 v167, v55, v54 offset0:180 offset1:225
	ds_write_b32 v167, v62 offset:1080
	s_and_saveexec_b32 s1, s0
	s_cbranch_execz .LBB0_15
; %bb.14:
	v_sub_f16_e32 v39, v48, v39
	v_add_f16_e32 v40, v40, v45
	v_lshlrev_b32_e32 v45, 2, v102
	v_add_f16_e32 v43, v46, v50
	v_sub_f16_e32 v44, v51, v47
	v_add_f16_e32 v41, v41, v49
	v_sub_f16_e32 v38, v42, v38
	v_perm_b32 v36, v37, v36, 0x5040100
	v_pack_b32_f16 v37, v40, v39
	v_add_nc_u32_e32 v39, 0x1200, v45
	v_pack_b32_f16 v40, v41, v44
	v_pack_b32_f16 v38, v38, v43
	v_add_nc_u32_e32 v41, 0x1400, v45
	v_perm_b32 v42, v171, v168, 0x5040100
	v_perm_b32 v43, v170, v169, 0x5040100
	;; [unrolled: 1-line block ×3, first 2 shown]
	ds_write2_b32 v39, v36, v37 offset0:108 offset1:153
	ds_write2_b32 v41, v40, v38 offset0:70 offset1:115
	;; [unrolled: 1-line block ×3, first 2 shown]
	ds_write_b32 v45, v44 offset:6120
.LBB0_15:
	s_or_b32 exec_lo, exec_lo, s1
	v_lshlrev_b32_e32 v36, 4, v135
	v_lshlrev_b32_e32 v37, 4, v96
	s_waitcnt lgkmcnt(0)
	s_barrier
	buffer_gl0_inv
	s_clause 0x1
	global_load_dwordx4 v[40:43], v36, s[2:3] offset:1248
	global_load_dwordx4 v[36:39], v37, s[2:3] offset:1248
	v_add_nc_u32_e32 v96, 0x200, v113
	v_add_nc_u32_e32 v97, 0x800, v113
	;; [unrolled: 1-line block ×5, first 2 shown]
	ds_read2_b32 v[44:45], v113 offset1:63
	v_add_nc_u32_e32 v173, 0xc00, v113
	ds_read2_b32 v[61:62], v96 offset0:124 offset1:187
	ds_read2_b32 v[48:49], v97 offset0:118 offset1:181
	;; [unrolled: 1-line block ×6, first 2 shown]
	s_waitcnt lgkmcnt(5)
	v_lshrrev_b32_e32 v55, 16, v62
	s_waitcnt lgkmcnt(4)
	v_lshrrev_b32_e32 v105, 16, v48
	;; [unrolled: 2-line block ×4, first 2 shown]
	v_lshrrev_b32_e32 v103, 16, v49
	s_waitcnt lgkmcnt(1)
	v_lshrrev_b32_e32 v91, 16, v51
	v_lshrrev_b32_e32 v92, 16, v47
	;; [unrolled: 1-line block ×3, first 2 shown]
	s_waitcnt lgkmcnt(0)
	v_lshrrev_b32_e32 v107, 16, v90
	s_waitcnt vmcnt(1)
	v_mul_f16_sdwa v108, v105, v41 dst_sel:DWORD dst_unused:UNUSED_PAD src0_sel:DWORD src1_sel:WORD_1
	v_mul_f16_sdwa v174, v106, v43 dst_sel:DWORD dst_unused:UNUSED_PAD src0_sel:DWORD src1_sel:WORD_1
	s_waitcnt vmcnt(0)
	v_mul_f16_sdwa v175, v104, v36 dst_sel:DWORD dst_unused:UNUSED_PAD src0_sel:DWORD src1_sel:WORD_1
	v_mul_f16_sdwa v109, v53, v36 dst_sel:DWORD dst_unused:UNUSED_PAD src0_sel:DWORD src1_sel:WORD_1
	v_mul_f16_sdwa v177, v103, v37 dst_sel:DWORD dst_unused:UNUSED_PAD src0_sel:DWORD src1_sel:WORD_1
	v_mul_f16_sdwa v110, v49, v37 dst_sel:DWORD dst_unused:UNUSED_PAD src0_sel:DWORD src1_sel:WORD_1
	v_mul_f16_sdwa v178, v91, v38 dst_sel:DWORD dst_unused:UNUSED_PAD src0_sel:DWORD src1_sel:WORD_1
	v_mul_f16_sdwa v111, v51, v38 dst_sel:DWORD dst_unused:UNUSED_PAD src0_sel:DWORD src1_sel:WORD_1
	v_mul_f16_sdwa v180, v92, v39 dst_sel:DWORD dst_unused:UNUSED_PAD src0_sel:DWORD src1_sel:WORD_1
	v_mul_f16_sdwa v112, v47, v39 dst_sel:DWORD dst_unused:UNUSED_PAD src0_sel:DWORD src1_sel:WORD_1
	v_mul_f16_sdwa v101, v48, v41 dst_sel:DWORD dst_unused:UNUSED_PAD src0_sel:DWORD src1_sel:WORD_1
	v_fma_f16 v179, v48, v41, -v108
	v_fma_f16 v48, v46, v43, -v174
	;; [unrolled: 1-line block ×3, first 2 shown]
	v_fmac_f16_e32 v109, v104, v36
	v_fma_f16 v175, v49, v37, -v177
	v_fmac_f16_e32 v110, v103, v37
	v_fma_f16 v177, v51, v38, -v178
	v_fma_f16 v178, v47, v39, -v180
	v_fmac_f16_e32 v111, v91, v38
	v_fmac_f16_e32 v112, v92, v39
	v_mul_f16_sdwa v100, v46, v43 dst_sel:DWORD dst_unused:UNUSED_PAD src0_sel:DWORD src1_sel:WORD_1
	v_mul_f16_sdwa v102, v62, v40 dst_sel:DWORD dst_unused:UNUSED_PAD src0_sel:DWORD src1_sel:WORD_1
	v_add_f16_e32 v49, v175, v177
	v_add_f16_e32 v51, v174, v178
	;; [unrolled: 1-line block ×4, first 2 shown]
	v_mul_f16_sdwa v181, v55, v40 dst_sel:DWORD dst_unused:UNUSED_PAD src0_sel:DWORD src1_sel:WORD_1
	v_mul_f16_sdwa v176, v90, v42 dst_sel:DWORD dst_unused:UNUSED_PAD src0_sel:DWORD src1_sel:WORD_1
	v_fmac_f16_e32 v101, v105, v41
	v_fmac_f16_e32 v100, v106, v43
	;; [unrolled: 1-line block ×3, first 2 shown]
	v_add_f16_e32 v46, v45, v174
	v_sub_f16_e32 v105, v175, v174
	v_sub_f16_e32 v106, v177, v178
	v_add_f16_e32 v47, v50, v109
	v_sub_f16_e32 v55, v110, v111
	v_sub_f16_e32 v91, v175, v177
	v_fma_f16 v53, -0.5, v49, v45
	v_fmac_f16_e32 v45, -0.5, v51
	v_fma_f16 v92, -0.5, v92, v50
	v_fmac_f16_e32 v50, -0.5, v104
	v_mul_f16_sdwa v182, v107, v42 dst_sel:DWORD dst_unused:UNUSED_PAD src0_sel:DWORD src1_sel:WORD_1
	v_fmac_f16_e32 v176, v107, v42
	v_sub_f16_e32 v107, v110, v109
	v_sub_f16_e32 v180, v111, v112
	;; [unrolled: 1-line block ×4, first 2 shown]
	v_add_f16_e32 v108, v105, v106
	v_fmamk_f16 v105, v55, 0xbb9c, v45
	v_fmac_f16_e32 v45, 0x3b9c, v55
	v_fmamk_f16 v106, v91, 0x3b9c, v50
	v_fmac_f16_e32 v50, 0xbb9c, v91
	v_add_f16_e32 v107, v107, v180
	v_fma_f16 v90, v90, v42, -v182
	v_fmac_f16_e32 v45, 0xb8b4, v103
	v_fma_f16 v62, v62, v40, -v181
	v_fmac_f16_e32 v50, 0x38b4, v104
	v_sub_f16_e32 v182, v100, v176
	v_sub_f16_e32 v180, v48, v90
	v_fmac_f16_e32 v45, 0x34f2, v108
	v_add_f16_e32 v49, v179, v90
	v_fmac_f16_e32 v50, 0x34f2, v107
	v_add_f16_e32 v51, v62, v48
	v_sub_f16_e32 v181, v90, v48
	v_add_f16_e32 v183, v102, v100
	v_fma_f16 v49, -0.5, v49, v44
	v_pack_b32_f16 v189, v45, v50
	v_sub_f16_e32 v50, v62, v179
	v_fma_f16 v51, -0.5, v51, v44
	v_lshrrev_b32_e32 v45, 16, v44
	v_add_f16_e32 v44, v44, v62
	v_sub_f16_e32 v185, v176, v100
	v_add_f16_e32 v50, v50, v180
	v_sub_f16_e32 v180, v179, v62
	v_add_f16_e32 v184, v45, v102
	v_add_f16_e32 v44, v44, v179
	v_sub_f16_e32 v179, v179, v90
	v_sub_f16_e32 v62, v62, v48
	v_add_f16_e32 v180, v180, v181
	v_sub_f16_e32 v181, v102, v101
	v_add_f16_e32 v44, v44, v90
	v_add_f16_e32 v90, v184, v101
	;; [unrolled: 1-line block ×8, first 2 shown]
	v_sub_f16_e32 v48, v102, v100
	v_add_f16_e32 v46, v46, v177
	v_fma_f16 v182, -0.5, v182, v45
	v_fmac_f16_e32 v45, -0.5, v183
	v_sub_f16_e32 v183, v101, v102
	v_sub_f16_e32 v101, v101, v176
	v_fmamk_f16 v184, v48, 0x3b9c, v49
	v_fmac_f16_e32 v49, 0xbb9c, v48
	v_add_f16_e32 v47, v47, v111
	v_add_f16_e32 v183, v183, v185
	v_fmamk_f16 v185, v101, 0xbb9c, v51
	v_fmac_f16_e32 v51, 0x3b9c, v101
	v_fmac_f16_e32 v184, 0x38b4, v101
	;; [unrolled: 1-line block ×3, first 2 shown]
	v_add_f16_e32 v46, v46, v178
	v_fmac_f16_e32 v185, 0x38b4, v48
	v_fmac_f16_e32 v51, 0xb8b4, v48
	v_add_f16_e32 v48, v90, v100
	v_fmamk_f16 v90, v62, 0xbb9c, v182
	v_fmamk_f16 v100, v179, 0x3b9c, v45
	v_fmac_f16_e32 v45, 0xbb9c, v179
	v_fmac_f16_e32 v182, 0x3b9c, v62
	;; [unrolled: 1-line block ×10, first 2 shown]
	v_add_f16_e32 v47, v47, v112
	v_fmac_f16_e32 v51, 0x34f2, v180
	v_fmac_f16_e32 v45, 0x34f2, v183
	;; [unrolled: 1-line block ×4, first 2 shown]
	v_pack_b32_f16 v44, v44, v48
	v_add_nc_u32_e32 v102, 0xa00, v113
	v_pack_b32_f16 v46, v46, v47
	v_pack_b32_f16 v47, v184, v90
	;; [unrolled: 1-line block ×3, first 2 shown]
	v_add_nc_u32_e32 v176, 0x1400, v113
	v_pack_b32_f16 v45, v51, v45
	v_add_nc_u32_e32 v101, 0x600, v113
	v_pack_b32_f16 v49, v49, v182
	v_add_nc_u32_e32 v100, 0x1000, v113
	ds_read2_b32 v[179:180], v102 offset0:116 offset1:179
	ds_read2_b32 v[181:182], v176 offset0:106 offset1:169
	;; [unrolled: 1-line block ×4, first 2 shown]
	ds_write_b32 v113, v47 offset:1260
	ds_read2_b32 v[187:188], v113 offset0:126 offset1:189
	ds_write_b32 v113, v48 offset:2520
	ds_write_b32 v113, v45 offset:3780
	;; [unrolled: 1-line block ×3, first 2 shown]
	ds_read_b32 v62, v113 offset:6048
	ds_write2_b32 v113, v44, v46 offset1:63
	v_lshlrev_b32_e32 v44, 4, v95
	v_lshlrev_b32_e32 v45, 4, v94
	s_clause 0x1
	global_load_dwordx4 v[48:51], v44, s[2:3] offset:1248
	global_load_dwordx4 v[44:47], v45, s[2:3] offset:1248
	v_lshrrev_b32_e32 v90, 16, v54
	v_lshrrev_b32_e32 v95, 16, v52
	v_sub_f16_e32 v109, v109, v110
	v_sub_f16_e32 v110, v112, v111
	v_fmac_f16_e32 v105, 0x38b4, v103
	v_fmac_f16_e32 v106, 0xb8b4, v104
	s_waitcnt lgkmcnt(8)
	v_lshrrev_b32_e32 v198, 16, v183
	v_fmac_f16_e32 v105, 0x34f2, v108
	s_waitcnt lgkmcnt(5)
	v_lshrrev_b32_e32 v200, 16, v188
	v_fmac_f16_e32 v106, 0x34f2, v107
	v_pack_b32_f16 v105, v105, v106
	s_waitcnt vmcnt(1)
	v_mul_f16_sdwa v94, v90, v48 dst_sel:DWORD dst_unused:UNUSED_PAD src0_sel:DWORD src1_sel:WORD_1
	v_mul_f16_sdwa v191, v52, v50 dst_sel:DWORD dst_unused:UNUSED_PAD src0_sel:DWORD src1_sel:WORD_1
	;; [unrolled: 1-line block ×4, first 2 shown]
	s_waitcnt vmcnt(0)
	v_mul_f16_sdwa v199, v183, v44 dst_sel:DWORD dst_unused:UNUSED_PAD src0_sel:DWORD src1_sel:WORD_1
	v_fma_f16 v94, v54, v48, -v94
	v_mul_f16_sdwa v54, v54, v48 dst_sel:DWORD dst_unused:UNUSED_PAD src0_sel:DWORD src1_sel:WORD_1
	v_fmac_f16_e32 v191, v95, v50
	v_lshrrev_b32_e32 v95, 16, v179
	v_fma_f16 v190, v52, v50, -v190
	v_sub_f16_e32 v52, v174, v175
	v_fmac_f16_e32 v54, v90, v48
	v_add_f16_e32 v90, v109, v110
	v_mul_f16_sdwa v109, v179, v49 dst_sel:DWORD dst_unused:UNUSED_PAD src0_sel:DWORD src1_sel:WORD_1
	v_lshrrev_b32_e32 v110, 16, v181
	v_sub_f16_e32 v174, v178, v177
	v_fmamk_f16 v177, v104, 0xbb9c, v92
	v_lshrrev_b32_e32 v178, 16, v187
	v_fmac_f16_e32 v109, v95, v49
	v_mul_f16_sdwa v95, v95, v49 dst_sel:DWORD dst_unused:UNUSED_PAD src0_sel:DWORD src1_sel:WORD_1
	v_fmac_f16_e32 v111, v110, v51
	v_mul_f16_sdwa v110, v110, v51 dst_sel:DWORD dst_unused:UNUSED_PAD src0_sel:DWORD src1_sel:WORD_1
	v_add_f16_e32 v52, v52, v174
	v_fmac_f16_e32 v177, 0xb8b4, v91
	v_fma_f16 v95, v179, v49, -v95
	v_sub_f16_e32 v175, v111, v191
	v_fma_f16 v110, v181, v51, -v110
	v_add_f16_e32 v179, v109, v191
	v_fmac_f16_e32 v177, 0x34f2, v90
	v_sub_f16_e32 v112, v94, v95
	v_sub_f16_e32 v181, v54, v111
	;; [unrolled: 1-line block ×3, first 2 shown]
	v_fma_f16 v179, -0.5, v179, v178
	v_sub_f16_e32 v194, v94, v110
	v_sub_f16_e32 v192, v109, v191
	;; [unrolled: 1-line block ×3, first 2 shown]
	v_add_f16_e32 v112, v112, v174
	v_sub_f16_e32 v174, v54, v109
	v_fmamk_f16 v196, v194, 0xbb9c, v179
	v_fmac_f16_e32 v199, v198, v44
	v_mul_f16_sdwa v198, v198, v44 dst_sel:DWORD dst_unused:UNUSED_PAD src0_sel:DWORD src1_sel:WORD_1
	v_add_f16_e32 v211, v94, v110
	v_add_f16_e32 v174, v174, v175
	v_fmamk_f16 v175, v103, 0x3b9c, v53
	v_fmac_f16_e32 v196, 0xb8b4, v195
	v_fma_f16 v183, v183, v44, -v198
	v_add_f16_e32 v204, v200, v199
	v_fma_f16 v211, -0.5, v211, v187
	v_fmac_f16_e32 v175, 0x38b4, v55
	v_fmac_f16_e32 v196, 0x34f2, v174
	v_add_f16_e32 v201, v188, v183
	v_add_f16_e32 v212, v178, v54
	v_sub_f16_e32 v107, v191, v111
	v_fmac_f16_e32 v175, 0x34f2, v52
	v_fmac_f16_e32 v53, 0xbb9c, v103
	;; [unrolled: 1-line block ×4, first 2 shown]
	v_fmamk_f16 v106, v192, 0xbb9c, v211
	v_pack_b32_f16 v175, v175, v177
	v_add_f16_e32 v177, v95, v190
	v_fmac_f16_e32 v211, 0x3b9c, v192
	v_fmac_f16_e32 v53, 0xb8b4, v55
	;; [unrolled: 1-line block ×4, first 2 shown]
	v_fma_f16 v177, -0.5, v177, v187
	v_add_f16_e32 v187, v187, v94
	v_sub_f16_e32 v94, v95, v94
	v_fmac_f16_e32 v211, 0xb8b4, v181
	v_fmac_f16_e32 v53, 0x34f2, v52
	v_fmamk_f16 v193, v181, 0x3b9c, v177
	v_fmac_f16_e32 v177, 0xbb9c, v181
	v_fmac_f16_e32 v92, 0x34f2, v90
	;; [unrolled: 1-line block ×6, first 2 shown]
	v_pack_b32_f16 v52, v53, v92
	v_lshrrev_b32_e32 v90, 16, v184
	v_lshrrev_b32_e32 v103, 16, v186
	v_fmac_f16_e32 v193, 0x34f2, v112
	v_fmac_f16_e32 v177, 0x34f2, v112
	v_pack_b32_f16 v193, v193, v196
	v_lshrrev_b32_e32 v196, 16, v182
	v_pack_b32_f16 v53, v177, v179
	ds_write2_b32 v172, v175, v193 offset0:122 offset1:185
	v_lshrrev_b32_e32 v175, 16, v180
	v_mul_f16_sdwa v197, v196, v47 dst_sel:DWORD dst_unused:UNUSED_PAD src0_sel:DWORD src1_sel:WORD_1
	ds_write2_b32 v176, v52, v53 offset0:43 offset1:106
	v_lshlrev_b32_e32 v52, 4, v93
	v_lshrrev_b32_e32 v93, 16, v89
	v_mul_f16_sdwa v193, v175, v45 dst_sel:DWORD dst_unused:UNUSED_PAD src0_sel:DWORD src1_sel:WORD_1
	v_fma_f16 v197, v182, v47, -v197
	v_mul_f16_sdwa v182, v182, v47 dst_sel:DWORD dst_unused:UNUSED_PAD src0_sel:DWORD src1_sel:WORD_1
	v_fma_f16 v193, v180, v45, -v193
	v_mul_f16_sdwa v180, v180, v45 dst_sel:DWORD dst_unused:UNUSED_PAD src0_sel:DWORD src1_sel:WORD_1
	v_fmac_f16_e32 v182, v196, v47
	v_mul_f16_sdwa v196, v185, v46 dst_sel:DWORD dst_unused:UNUSED_PAD src0_sel:DWORD src1_sel:WORD_1
	v_add_f16_e32 v198, v183, v197
	v_sub_f16_e32 v210, v183, v197
	v_fmac_f16_e32 v180, v175, v45
	v_lshrrev_b32_e32 v175, 16, v185
	v_add_f16_e32 v203, v199, v182
	v_sub_f16_e32 v209, v199, v182
	v_add_f16_e32 v108, v204, v180
	v_fmac_f16_e32 v196, v175, v46
	v_mul_f16_sdwa v175, v175, v46 dst_sel:DWORD dst_unused:UNUSED_PAD src0_sel:DWORD src1_sel:WORD_1
	v_sub_f16_e32 v205, v196, v182
	v_fma_f16 v175, v185, v46, -v175
	v_add_f16_e32 v108, v108, v196
	v_add_f16_e32 v185, v193, v175
	v_sub_f16_e32 v202, v175, v197
	v_sub_f16_e32 v207, v193, v175
	v_fma_f16 v185, -0.5, v185, v188
	v_fmac_f16_e32 v188, -0.5, v198
	v_sub_f16_e32 v198, v193, v183
	v_add_f16_e32 v198, v198, v202
	v_add_f16_e32 v202, v180, v196
	v_fma_f16 v202, -0.5, v202, v200
	v_fmac_f16_e32 v200, -0.5, v203
	v_sub_f16_e32 v203, v180, v199
	v_fmamk_f16 v208, v207, 0x3b9c, v200
	v_add_f16_e32 v203, v203, v205
	v_sub_f16_e32 v205, v180, v196
	v_fmac_f16_e32 v200, 0xbb9c, v207
	v_fmac_f16_e32 v208, 0xb8b4, v210
	v_fmamk_f16 v206, v205, 0xbb9c, v188
	v_fmac_f16_e32 v188, 0x3b9c, v205
	v_fmac_f16_e32 v200, 0x38b4, v210
	v_fmac_f16_e32 v208, 0x34f2, v203
	v_fmac_f16_e32 v206, 0x38b4, v209
	v_fmac_f16_e32 v188, 0xb8b4, v209
	v_fmac_f16_e32 v200, 0x34f2, v203
	v_fmac_f16_e32 v206, 0x34f2, v198
	v_fmac_f16_e32 v188, 0x34f2, v198
	v_pack_b32_f16 v188, v188, v200
	v_sub_f16_e32 v200, v190, v110
	v_add_f16_e32 v94, v94, v200
	v_add_f16_e32 v200, v54, v111
	v_sub_f16_e32 v54, v109, v54
	v_fmac_f16_e32 v211, 0x34f2, v94
	v_fmac_f16_e32 v178, -0.5, v200
	v_add_f16_e32 v54, v54, v107
	v_fmac_f16_e32 v106, 0x34f2, v94
	v_fmamk_f16 v107, v195, 0x3b9c, v178
	v_fmac_f16_e32 v178, 0xbb9c, v195
	v_fmac_f16_e32 v107, 0xb8b4, v194
	;; [unrolled: 1-line block ×5, first 2 shown]
	v_pack_b32_f16 v106, v106, v107
	v_pack_b32_f16 v54, v211, v178
	v_sub_f16_e32 v107, v197, v175
	ds_write2_b32 v97, v105, v106 offset0:181 offset1:244
	ds_write2_b32 v98, v189, v54 offset0:112 offset1:175
	global_load_dwordx4 v[52:55], v52, s[2:3] offset:1248
	v_sub_f16_e32 v106, v183, v193
	v_add_f16_e32 v106, v106, v107
	v_fmamk_f16 v107, v209, 0x3b9c, v185
	v_fmac_f16_e32 v185, 0xbb9c, v209
	v_fmac_f16_e32 v107, 0x38b4, v205
	;; [unrolled: 1-line block ×5, first 2 shown]
	v_add_f16_e32 v106, v108, v182
	s_waitcnt vmcnt(0)
	v_mul_f16_sdwa v92, v184, v52 dst_sel:DWORD dst_unused:UNUSED_PAD src0_sel:DWORD src1_sel:WORD_1
	v_mul_f16_sdwa v94, v93, v53 dst_sel:DWORD dst_unused:UNUSED_PAD src0_sel:DWORD src1_sel:WORD_1
	;; [unrolled: 1-line block ×5, first 2 shown]
	v_fmac_f16_e32 v92, v90, v52
	v_fma_f16 v94, v89, v53, -v94
	v_mul_f16_sdwa v89, v89, v53 dst_sel:DWORD dst_unused:UNUSED_PAD src0_sel:DWORD src1_sel:WORD_1
	s_waitcnt lgkmcnt(5)
	v_lshrrev_b32_e32 v90, 16, v62
	v_fma_f16 v91, v184, v52, -v91
	v_fma_f16 v104, v186, v54, -v104
	v_fmac_f16_e32 v105, v103, v54
	v_fmac_f16_e32 v89, v93, v53
	v_mul_f16_sdwa v93, v90, v55 dst_sel:DWORD dst_unused:UNUSED_PAD src0_sel:DWORD src1_sel:WORD_1
	v_sub_f16_e32 v108, v91, v94
	v_add_f16_e32 v103, v201, v193
	v_fma_f16 v93, v62, v55, -v93
	v_mul_f16_sdwa v62, v62, v55 dst_sel:DWORD dst_unused:UNUSED_PAD src0_sel:DWORD src1_sel:WORD_1
	v_add_f16_e32 v103, v103, v175
	v_sub_f16_e32 v175, v89, v105
	v_add_f16_e32 v112, v91, v93
	v_fmac_f16_e32 v62, v90, v55
	v_add_f16_e32 v90, v187, v95
	v_add_f16_e32 v95, v212, v109
	v_sub_f16_e32 v109, v199, v180
	v_sub_f16_e32 v179, v104, v93
	v_add_f16_e32 v103, v103, v197
	v_add_f16_e32 v90, v90, v190
	;; [unrolled: 1-line block ×4, first 2 shown]
	v_sub_f16_e32 v110, v182, v196
	v_add_f16_e32 v95, v95, v111
	v_add_f16_e32 v111, v94, v104
	;; [unrolled: 1-line block ×3, first 2 shown]
	v_fmamk_f16 v110, v210, 0xbb9c, v202
	v_fmac_f16_e32 v202, 0x3b9c, v210
	v_fma_f16 v174, -0.5, v111, v61
	v_add_f16_e32 v111, v61, v91
	v_fmac_f16_e32 v110, 0xb8b4, v207
	v_fmac_f16_e32 v202, 0x38b4, v207
	;; [unrolled: 1-line block ×4, first 2 shown]
	v_sub_f16_e32 v109, v93, v104
	v_add_f16_e32 v108, v108, v109
	v_lshrrev_b32_e32 v109, 16, v61
	v_fmac_f16_e32 v61, -0.5, v112
	v_sub_f16_e32 v112, v92, v62
	v_fmamk_f16 v178, v175, 0xbb9c, v61
	v_fmamk_f16 v177, v112, 0x3b9c, v174
	v_fmac_f16_e32 v174, 0xbb9c, v112
	v_fmac_f16_e32 v61, 0x3b9c, v175
	;; [unrolled: 1-line block ×5, first 2 shown]
	v_sub_f16_e32 v175, v94, v91
	v_sub_f16_e32 v91, v91, v93
	v_fmac_f16_e32 v61, 0xb8b4, v112
	v_fmac_f16_e32 v177, 0x34f2, v108
	;; [unrolled: 1-line block ×3, first 2 shown]
	v_add_f16_e32 v108, v111, v94
	v_add_f16_e32 v175, v175, v179
	;; [unrolled: 1-line block ×4, first 2 shown]
	v_fmac_f16_e32 v178, 0x34f2, v175
	v_fmac_f16_e32 v61, 0x34f2, v175
	v_add_f16_e32 v108, v108, v93
	v_sub_f16_e32 v93, v94, v104
	v_sub_f16_e32 v94, v92, v89
	;; [unrolled: 1-line block ×3, first 2 shown]
	v_add_f16_e32 v94, v94, v104
	v_add_f16_e32 v104, v89, v105
	v_fma_f16 v175, -0.5, v104, v109
	v_add_f16_e32 v104, v92, v62
	v_fmac_f16_e32 v109, -0.5, v104
	v_add_f16_e32 v104, v111, v89
	v_sub_f16_e32 v89, v89, v92
	v_add_f16_e32 v92, v104, v105
	v_fmamk_f16 v104, v91, 0xbb9c, v175
	v_fmac_f16_e32 v175, 0x3b9c, v91
	v_add_f16_e32 v92, v92, v62
	v_sub_f16_e32 v62, v105, v62
	v_fmamk_f16 v105, v93, 0x3b9c, v109
	v_fmac_f16_e32 v109, 0xbb9c, v93
	v_fmac_f16_e32 v104, 0xb8b4, v93
	;; [unrolled: 1-line block ×3, first 2 shown]
	v_add_f16_e32 v62, v89, v62
	v_fmac_f16_e32 v105, 0xb8b4, v91
	v_fmac_f16_e32 v109, 0x38b4, v91
	v_pack_b32_f16 v89, v90, v95
	v_pack_b32_f16 v90, v103, v106
	v_fmac_f16_e32 v104, 0x34f2, v94
	v_pack_b32_f16 v91, v206, v208
	v_fmac_f16_e32 v105, 0x34f2, v62
	v_fmac_f16_e32 v109, 0x34f2, v62
	ds_write2_b32 v113, v89, v90 offset0:126 offset1:189
	v_pack_b32_f16 v89, v185, v202
	v_pack_b32_f16 v90, v108, v92
	v_fmac_f16_e32 v175, 0x34f2, v94
	v_pack_b32_f16 v62, v107, v110
	ds_write_b32 v113, v91 offset:3276
	ds_write_b32 v113, v188 offset:4536
	v_pack_b32_f16 v91, v177, v104
	v_pack_b32_f16 v92, v178, v105
	;; [unrolled: 1-line block ×3, first 2 shown]
	ds_write_b32 v113, v89 offset:5796
	ds_write_b32 v113, v90 offset:1008
	ds_write2_b32 v101, v62, v91 offset0:120 offset1:183
	ds_write_b32 v113, v92 offset:3528
	ds_write_b32 v113, v61 offset:4788
	v_add_co_u32 v61, s1, 0x1800, v58
	v_pack_b32_f16 v89, v174, v175
	v_add_co_ci_u32_e64 v62, s1, 0, v59, s1
	ds_write_b32 v113, v89 offset:6048
	s_waitcnt lgkmcnt(0)
	s_barrier
	buffer_gl0_inv
	global_load_dword v91, v[61:62], off offset:156
	v_add_co_u32 v89, s1, 0x2000, v58
	v_add_co_ci_u32_e64 v90, s1, 0, v59, s1
	s_clause 0x1
	global_load_dword v107, v[89:90], off offset:964
	global_load_dword v108, v[89:90], off offset:1216
	ds_read2_b32 v[92:93], v113 offset1:63
	v_add_co_u32 v94, s1, 0x2800, v58
	v_add_co_ci_u32_e64 v95, s1, 0, v59, s1
	global_load_dword v109, v[94:95], off offset:2024
	s_waitcnt lgkmcnt(0)
	v_lshrrev_b32_e32 v103, 16, v92
	s_waitcnt vmcnt(3)
	v_mul_f16_sdwa v104, v103, v91 dst_sel:DWORD dst_unused:UNUSED_PAD src0_sel:DWORD src1_sel:WORD_1
	v_mul_f16_sdwa v105, v92, v91 dst_sel:DWORD dst_unused:UNUSED_PAD src0_sel:DWORD src1_sel:WORD_1
	v_fma_f16 v92, v92, v91, -v104
	v_fmac_f16_e32 v105, v103, v91
	v_pack_b32_f16 v91, v92, v105
	ds_write_b32 v113, v91
	ds_read2_b32 v[103:104], v97 offset0:139 offset1:202
	ds_read2_b32 v[105:106], v173 offset0:9 offset1:72
	s_clause 0x3
	global_load_dword v110, v[89:90], off offset:1468
	global_load_dword v111, v[89:90], off offset:1720
	;; [unrolled: 1-line block ×4, first 2 shown]
	s_waitcnt lgkmcnt(1)
	v_lshrrev_b32_e32 v91, 16, v104
	s_waitcnt vmcnt(6)
	v_mul_f16_sdwa v178, v104, v107 dst_sel:DWORD dst_unused:UNUSED_PAD src0_sel:DWORD src1_sel:WORD_1
	s_waitcnt lgkmcnt(0)
	v_lshrrev_b32_e32 v92, 16, v105
	s_waitcnt vmcnt(5)
	v_mul_f16_sdwa v179, v105, v108 dst_sel:DWORD dst_unused:UNUSED_PAD src0_sel:DWORD src1_sel:WORD_1
	v_mul_f16_sdwa v180, v91, v107 dst_sel:DWORD dst_unused:UNUSED_PAD src0_sel:DWORD src1_sel:WORD_1
	v_fmac_f16_e32 v178, v91, v107
	v_add_co_u32 v91, s1, 0x189c, v58
	v_fmac_f16_e32 v179, v92, v108
	v_mul_f16_sdwa v181, v92, v108 dst_sel:DWORD dst_unused:UNUSED_PAD src0_sel:DWORD src1_sel:WORD_1
	v_add_co_ci_u32_e64 v92, s1, 0, v59, s1
	v_fma_f16 v104, v104, v107, -v180
	v_fma_f16 v105, v105, v108, -v181
	global_load_dword v107, v[91:92], off offset:252
	v_lshrrev_b32_e32 v108, 16, v93
	v_pack_b32_f16 v104, v104, v178
	v_pack_b32_f16 v105, v105, v179
	ds_write2_b32 v102, v104, v105 offset0:74 offset1:137
	s_clause 0x5
	global_load_dword v102, v[91:92], off offset:504
	global_load_dword v104, v[91:92], off offset:756
	;; [unrolled: 1-line block ×6, first 2 shown]
	s_waitcnt vmcnt(6)
	v_mul_f16_sdwa v181, v108, v107 dst_sel:DWORD dst_unused:UNUSED_PAD src0_sel:DWORD src1_sel:WORD_1
	v_fma_f16 v181, v93, v107, -v181
	v_mul_f16_sdwa v93, v93, v107 dst_sel:DWORD dst_unused:UNUSED_PAD src0_sel:DWORD src1_sel:WORD_1
	v_fmac_f16_e32 v93, v108, v107
	s_clause 0x1
	global_load_dword v107, v[89:90], off offset:208
	global_load_dword v108, v[89:90], off offset:460
	ds_read2_b32 v[89:90], v97 offset0:13 offset1:76
	v_pack_b32_f16 v93, v181, v93
	s_waitcnt lgkmcnt(0)
	v_lshrrev_b32_e32 v182, 16, v89
	s_waitcnt vmcnt(1)
	v_mul_f16_sdwa v183, v89, v107 dst_sel:DWORD dst_unused:UNUSED_PAD src0_sel:DWORD src1_sel:WORD_1
	s_waitcnt vmcnt(0)
	v_mul_f16_sdwa v184, v90, v108 dst_sel:DWORD dst_unused:UNUSED_PAD src0_sel:DWORD src1_sel:WORD_1
	v_fmac_f16_e32 v183, v182, v107
	v_mul_f16_sdwa v182, v182, v107 dst_sel:DWORD dst_unused:UNUSED_PAD src0_sel:DWORD src1_sel:WORD_1
	v_fma_f16 v107, v89, v107, -v182
	v_lshrrev_b32_e32 v89, 16, v90
	v_pack_b32_f16 v107, v107, v183
	v_mul_f16_sdwa v182, v89, v108 dst_sel:DWORD dst_unused:UNUSED_PAD src0_sel:DWORD src1_sel:WORD_1
	v_fmac_f16_e32 v184, v89, v108
	v_fma_f16 v182, v90, v108, -v182
	s_clause 0x6
	global_load_dword v108, v[94:95], off offset:260
	global_load_dword v185, v[94:95], off offset:512
	;; [unrolled: 1-line block ×7, first 2 shown]
	ds_read2_b32 v[89:90], v100 offset0:26 offset1:89
	s_waitcnt lgkmcnt(0)
	v_lshrrev_b32_e32 v95, 16, v89
	s_waitcnt vmcnt(6)
	v_mul_f16_sdwa v190, v89, v108 dst_sel:DWORD dst_unused:UNUSED_PAD src0_sel:DWORD src1_sel:WORD_1
	s_waitcnt vmcnt(5)
	v_mul_f16_sdwa v191, v90, v185 dst_sel:DWORD dst_unused:UNUSED_PAD src0_sel:DWORD src1_sel:WORD_1
	v_fmac_f16_e32 v190, v95, v108
	v_mul_f16_sdwa v95, v95, v108 dst_sel:DWORD dst_unused:UNUSED_PAD src0_sel:DWORD src1_sel:WORD_1
	v_fma_f16 v95, v89, v108, -v95
	v_lshrrev_b32_e32 v89, 16, v90
	v_pack_b32_f16 v95, v95, v190
	v_mul_f16_sdwa v108, v89, v185 dst_sel:DWORD dst_unused:UNUSED_PAD src0_sel:DWORD src1_sel:WORD_1
	v_fmac_f16_e32 v191, v89, v185
	v_lshrrev_b32_e32 v89, 16, v103
	v_fma_f16 v108, v90, v185, -v108
	v_mul_f16_sdwa v90, v89, v177 dst_sel:DWORD dst_unused:UNUSED_PAD src0_sel:DWORD src1_sel:WORD_1
	v_pack_b32_f16 v108, v108, v191
	v_fma_f16 v185, v103, v177, -v90
	v_mul_f16_sdwa v103, v103, v177 dst_sel:DWORD dst_unused:UNUSED_PAD src0_sel:DWORD src1_sel:WORD_1
	v_fmac_f16_e32 v103, v89, v177
	ds_read2_b32 v[89:90], v113 offset0:126 offset1:189
	v_pack_b32_f16 v103, v185, v103
	s_waitcnt lgkmcnt(0)
	v_lshrrev_b32_e32 v177, 16, v89
	v_mul_f16_sdwa v192, v89, v102 dst_sel:DWORD dst_unused:UNUSED_PAD src0_sel:DWORD src1_sel:WORD_1
	v_mul_f16_sdwa v193, v90, v104 dst_sel:DWORD dst_unused:UNUSED_PAD src0_sel:DWORD src1_sel:WORD_1
	v_fmac_f16_e32 v192, v177, v102
	v_mul_f16_sdwa v177, v177, v102 dst_sel:DWORD dst_unused:UNUSED_PAD src0_sel:DWORD src1_sel:WORD_1
	v_fma_f16 v102, v89, v102, -v177
	v_lshrrev_b32_e32 v89, 16, v90
	v_mul_f16_sdwa v177, v89, v104 dst_sel:DWORD dst_unused:UNUSED_PAD src0_sel:DWORD src1_sel:WORD_1
	v_fmac_f16_e32 v193, v89, v104
	v_fma_f16 v177, v90, v104, -v177
	ds_read2_b32 v[89:90], v100 offset0:152 offset1:215
	s_waitcnt lgkmcnt(0)
	v_lshrrev_b32_e32 v104, 16, v89
	s_waitcnt vmcnt(4)
	v_mul_f16_sdwa v194, v89, v186 dst_sel:DWORD dst_unused:UNUSED_PAD src0_sel:DWORD src1_sel:WORD_1
	s_waitcnt vmcnt(3)
	v_mul_f16_sdwa v195, v90, v187 dst_sel:DWORD dst_unused:UNUSED_PAD src0_sel:DWORD src1_sel:WORD_1
	v_fmac_f16_e32 v194, v104, v186
	v_mul_f16_sdwa v104, v104, v186 dst_sel:DWORD dst_unused:UNUSED_PAD src0_sel:DWORD src1_sel:WORD_1
	v_fma_f16 v104, v89, v186, -v104
	v_lshrrev_b32_e32 v89, 16, v90
	v_pack_b32_f16 v104, v104, v194
	v_mul_f16_sdwa v186, v89, v187 dst_sel:DWORD dst_unused:UNUSED_PAD src0_sel:DWORD src1_sel:WORD_1
	v_fmac_f16_e32 v195, v89, v187
	v_fma_f16 v186, v90, v187, -v186
	ds_read2_b32 v[89:90], v96 offset0:124 offset1:187
	s_waitcnt lgkmcnt(0)
	v_lshrrev_b32_e32 v187, 16, v89
	v_mul_f16_sdwa v196, v89, v105 dst_sel:DWORD dst_unused:UNUSED_PAD src0_sel:DWORD src1_sel:WORD_1
	v_mul_f16_sdwa v197, v90, v178 dst_sel:DWORD dst_unused:UNUSED_PAD src0_sel:DWORD src1_sel:WORD_1
	v_fmac_f16_e32 v196, v187, v105
	v_mul_f16_sdwa v187, v187, v105 dst_sel:DWORD dst_unused:UNUSED_PAD src0_sel:DWORD src1_sel:WORD_1
	v_fma_f16 v105, v89, v105, -v187
	v_lshrrev_b32_e32 v89, 16, v90
	v_pack_b32_f16 v105, v105, v196
	v_mul_f16_sdwa v187, v89, v178 dst_sel:DWORD dst_unused:UNUSED_PAD src0_sel:DWORD src1_sel:WORD_1
	v_fmac_f16_e32 v197, v89, v178
	v_lshrrev_b32_e32 v89, 16, v106
	v_fma_f16 v187, v90, v178, -v187
	v_mul_f16_sdwa v90, v89, v110 dst_sel:DWORD dst_unused:UNUSED_PAD src0_sel:DWORD src1_sel:WORD_1
	v_pack_b32_f16 v181, v187, v197
	v_fma_f16 v178, v106, v110, -v90
	v_mul_f16_sdwa v106, v106, v110 dst_sel:DWORD dst_unused:UNUSED_PAD src0_sel:DWORD src1_sel:WORD_1
	v_fmac_f16_e32 v106, v89, v110
	ds_read2_b32 v[89:90], v176 offset0:22 offset1:85
	v_pack_b32_f16 v106, v178, v106
	s_waitcnt lgkmcnt(0)
	v_lshrrev_b32_e32 v110, 16, v89
	s_waitcnt vmcnt(2)
	v_mul_f16_sdwa v198, v89, v188 dst_sel:DWORD dst_unused:UNUSED_PAD src0_sel:DWORD src1_sel:WORD_1
	s_waitcnt vmcnt(1)
	v_mul_f16_sdwa v199, v90, v189 dst_sel:DWORD dst_unused:UNUSED_PAD src0_sel:DWORD src1_sel:WORD_1
	v_fmac_f16_e32 v198, v110, v188
	v_mul_f16_sdwa v110, v110, v188 dst_sel:DWORD dst_unused:UNUSED_PAD src0_sel:DWORD src1_sel:WORD_1
	v_fma_f16 v110, v89, v188, -v110
	v_lshrrev_b32_e32 v89, 16, v90
	v_pack_b32_f16 v110, v110, v198
	v_mul_f16_sdwa v188, v89, v189 dst_sel:DWORD dst_unused:UNUSED_PAD src0_sel:DWORD src1_sel:WORD_1
	v_fmac_f16_e32 v199, v89, v189
	v_fma_f16 v188, v90, v189, -v188
	ds_read2_b32 v[89:90], v172 offset0:122 offset1:185
	v_pack_b32_f16 v178, v188, v199
	s_waitcnt lgkmcnt(0)
	v_lshrrev_b32_e32 v189, 16, v89
	v_mul_f16_sdwa v200, v89, v179 dst_sel:DWORD dst_unused:UNUSED_PAD src0_sel:DWORD src1_sel:WORD_1
	v_mul_f16_sdwa v201, v90, v180 dst_sel:DWORD dst_unused:UNUSED_PAD src0_sel:DWORD src1_sel:WORD_1
	v_fmac_f16_e32 v200, v189, v179
	v_mul_f16_sdwa v189, v189, v179 dst_sel:DWORD dst_unused:UNUSED_PAD src0_sel:DWORD src1_sel:WORD_1
	v_fma_f16 v179, v89, v179, -v189
	v_lshrrev_b32_e32 v89, 16, v90
	v_pack_b32_f16 v179, v179, v200
	v_mul_f16_sdwa v189, v89, v180 dst_sel:DWORD dst_unused:UNUSED_PAD src0_sel:DWORD src1_sel:WORD_1
	v_fmac_f16_e32 v201, v89, v180
	v_fma_f16 v189, v90, v180, -v189
	ds_read2_b32 v[89:90], v173 offset0:135 offset1:198
	s_waitcnt lgkmcnt(0)
	v_lshrrev_b32_e32 v180, 16, v89
	v_mul_f16_sdwa v202, v89, v111 dst_sel:DWORD dst_unused:UNUSED_PAD src0_sel:DWORD src1_sel:WORD_1
	v_mul_f16_sdwa v203, v90, v112 dst_sel:DWORD dst_unused:UNUSED_PAD src0_sel:DWORD src1_sel:WORD_1
	v_fmac_f16_e32 v202, v180, v111
	v_mul_f16_sdwa v180, v180, v111 dst_sel:DWORD dst_unused:UNUSED_PAD src0_sel:DWORD src1_sel:WORD_1
	v_fma_f16 v111, v89, v111, -v180
	v_lshrrev_b32_e32 v89, 16, v90
	v_pack_b32_f16 v111, v111, v202
	v_mul_f16_sdwa v180, v89, v112 dst_sel:DWORD dst_unused:UNUSED_PAD src0_sel:DWORD src1_sel:WORD_1
	v_fmac_f16_e32 v203, v89, v112
	v_fma_f16 v180, v90, v112, -v180
	ds_read2_b32 v[89:90], v176 offset0:148 offset1:211
	v_pack_b32_f16 v180, v180, v203
	s_waitcnt lgkmcnt(0)
	v_lshrrev_b32_e32 v112, 16, v89
	s_waitcnt vmcnt(0)
	v_mul_f16_sdwa v204, v89, v94 dst_sel:DWORD dst_unused:UNUSED_PAD src0_sel:DWORD src1_sel:WORD_1
	v_fmac_f16_e32 v204, v112, v94
	v_mul_f16_sdwa v112, v112, v94 dst_sel:DWORD dst_unused:UNUSED_PAD src0_sel:DWORD src1_sel:WORD_1
	v_fma_f16 v89, v89, v94, -v112
	v_lshrrev_b32_e32 v94, 16, v90
	v_pack_b32_f16 v89, v89, v204
	v_mul_f16_sdwa v112, v94, v109 dst_sel:DWORD dst_unused:UNUSED_PAD src0_sel:DWORD src1_sel:WORD_1
	v_fma_f16 v112, v90, v109, -v112
	v_mul_f16_sdwa v90, v90, v109 dst_sel:DWORD dst_unused:UNUSED_PAD src0_sel:DWORD src1_sel:WORD_1
	v_fmac_f16_e32 v90, v94, v109
	v_pack_b32_f16 v94, v102, v192
	v_pack_b32_f16 v102, v182, v184
	;; [unrolled: 1-line block ×6, first 2 shown]
	ds_write2_b32 v113, v93, v94 offset0:63 offset1:126
	ds_write2_b32 v97, v102, v103 offset0:76 offset1:139
	;; [unrolled: 1-line block ×10, first 2 shown]
	ds_write_b32 v113, v90 offset:5964
	s_and_saveexec_b32 s2, vcc_lo
	s_cbranch_execz .LBB0_17
; %bb.16:
	v_add_co_u32 v89, s1, 0x1000, v91
	v_add_co_ci_u32_e64 v90, s1, 0, v92, s1
	global_load_dword v93, v[91:92], off offset:2016
	v_add_co_u32 v91, s1, 0x1800, v91
	v_add_co_ci_u32_e64 v92, s1, 0, v92, s1
	s_clause 0x1
	global_load_dword v89, v[89:90], off offset:20
	global_load_dword v90, v[91:92], off offset:72
	ds_read_b32 v91, v113 offset:2016
	ds_read_b32 v92, v113 offset:4116
	;; [unrolled: 1-line block ×3, first 2 shown]
	s_waitcnt lgkmcnt(2)
	v_lshrrev_b32_e32 v95, 16, v91
	s_waitcnt lgkmcnt(1)
	v_lshrrev_b32_e32 v99, 16, v92
	;; [unrolled: 2-line block ×3, first 2 shown]
	s_waitcnt vmcnt(2)
	v_mul_f16_sdwa v98, v95, v93 dst_sel:DWORD dst_unused:UNUSED_PAD src0_sel:DWORD src1_sel:WORD_1
	v_mul_f16_sdwa v102, v91, v93 dst_sel:DWORD dst_unused:UNUSED_PAD src0_sel:DWORD src1_sel:WORD_1
	v_fma_f16 v91, v91, v93, -v98
	s_waitcnt vmcnt(1)
	v_mul_f16_sdwa v98, v99, v89 dst_sel:DWORD dst_unused:UNUSED_PAD src0_sel:DWORD src1_sel:WORD_1
	v_mul_f16_sdwa v103, v92, v89 dst_sel:DWORD dst_unused:UNUSED_PAD src0_sel:DWORD src1_sel:WORD_1
	s_waitcnt vmcnt(0)
	v_mul_f16_sdwa v104, v101, v90 dst_sel:DWORD dst_unused:UNUSED_PAD src0_sel:DWORD src1_sel:WORD_1
	v_mul_f16_sdwa v105, v94, v90 dst_sel:DWORD dst_unused:UNUSED_PAD src0_sel:DWORD src1_sel:WORD_1
	v_fmac_f16_e32 v102, v95, v93
	v_fma_f16 v92, v92, v89, -v98
	v_fmac_f16_e32 v103, v99, v89
	v_fma_f16 v89, v94, v90, -v104
	v_fmac_f16_e32 v105, v101, v90
	v_pack_b32_f16 v90, v91, v102
	v_pack_b32_f16 v91, v92, v103
	;; [unrolled: 1-line block ×3, first 2 shown]
	ds_write_b32 v113, v90 offset:2016
	ds_write_b32 v113, v91 offset:4116
	;; [unrolled: 1-line block ×3, first 2 shown]
.LBB0_17:
	s_or_b32 exec_lo, exec_lo, s2
	s_waitcnt lgkmcnt(0)
	s_barrier
	buffer_gl0_inv
	ds_read2_b32 v[109:110], v113 offset1:63
	ds_read2_b32 v[111:112], v97 offset0:13 offset1:76
	ds_read2_b32 v[107:108], v100 offset0:26 offset1:89
	;; [unrolled: 1-line block ×11, first 2 shown]
	s_and_saveexec_b32 s1, vcc_lo
	s_cbranch_execz .LBB0_19
; %bb.18:
	ds_read_b32 v174, v113 offset:2016
	ds_read_b32 v168, v113 offset:4116
	;; [unrolled: 1-line block ×3, first 2 shown]
	s_waitcnt lgkmcnt(2)
	v_lshrrev_b32_e32 v175, 16, v174
	s_waitcnt lgkmcnt(1)
	v_lshrrev_b32_e32 v171, 16, v168
	;; [unrolled: 2-line block ×3, first 2 shown]
.LBB0_19:
	s_or_b32 exec_lo, exec_lo, s1
	s_waitcnt lgkmcnt(10)
	v_pk_add_f16 v173, v109, v111
	v_add_f16_e32 v180, v169, v168
	s_waitcnt lgkmcnt(9)
	v_pk_add_f16 v185, v111, v107
	v_pk_add_f16 v111, v111, v107 neg_lo:[0,1] neg_hi:[0,1]
	v_add_f16_e32 v172, v174, v168
	v_add_f16_e32 v186, v175, v171
	v_fmac_f16_e32 v174, -0.5, v180
	v_add_f16_e32 v180, v170, v171
	v_pk_fma_f16 v109, v185, 0.5, v109 op_sel_hi:[1,0,1] neg_lo:[1,0,0] neg_hi:[1,0,0]
	v_pk_mul_f16 v111, 0x3aee, v111 op_sel_hi:[0,1]
	v_pk_add_f16 v176, v110, v112
	v_sub_f16_e32 v184, v171, v170
	v_fmac_f16_e32 v175, -0.5, v180
	v_sub_f16_e32 v180, v168, v169
	v_add_f16_e32 v168, v170, v186
	v_pk_add_f16 v170, v109, v111 op_sel:[0,1] op_sel_hi:[1,0] neg_lo:[0,1] neg_hi:[0,1]
	v_pk_add_f16 v109, v109, v111 op_sel:[0,1] op_sel_hi:[1,0]
	v_pk_add_f16 v111, v112, v108
	v_pk_add_f16 v112, v112, v108 neg_lo:[0,1] neg_hi:[0,1]
	v_pk_add_f16 v107, v173, v107
	s_waitcnt lgkmcnt(0)
	v_bfi_b32 v173, 0xffff, v170, v109
	v_pk_fma_f16 v110, v111, 0.5, v110 op_sel_hi:[1,0,1] neg_lo:[1,0,0] neg_hi:[1,0,0]
	v_pk_mul_f16 v111, 0x3aee, v112 op_sel_hi:[0,1]
	s_barrier
	buffer_gl0_inv
	ds_write2_b32 v143, v107, v173 offset1:1
	v_pk_add_f16 v177, v103, v105
	v_pk_add_f16 v107, v110, v111 op_sel:[0,1] op_sel_hi:[1,0] neg_lo:[0,1] neg_hi:[0,1]
	v_pk_add_f16 v110, v110, v111 op_sel:[0,1] op_sel_hi:[1,0]
	v_bfi_b32 v109, 0xffff, v109, v170
	v_pk_add_f16 v108, v176, v108
	v_pk_add_f16 v111, v105, v101
	v_pk_add_f16 v105, v105, v101 neg_lo:[0,1] neg_hi:[0,1]
	v_bfi_b32 v112, 0xffff, v107, v110
	v_pk_add_f16 v178, v104, v106
	ds_write_b32 v143, v109 offset:8
	v_bfi_b32 v107, 0xffff, v110, v107
	v_pk_fma_f16 v103, v111, 0.5, v103 op_sel_hi:[1,0,1] neg_lo:[1,0,0] neg_hi:[1,0,0]
	v_pk_mul_f16 v105, 0x3aee, v105 op_sel_hi:[0,1]
	ds_write2_b32 v140, v108, v112 offset1:1
	v_pk_add_f16 v108, v106, v102
	v_pk_add_f16 v106, v106, v102 neg_lo:[0,1] neg_hi:[0,1]
	v_pk_add_f16 v179, v97, v99
	ds_write_b32 v140, v107 offset:8
	v_pk_add_f16 v107, v103, v105 op_sel:[0,1] op_sel_hi:[1,0] neg_lo:[0,1] neg_hi:[0,1]
	v_pk_add_f16 v103, v103, v105 op_sel:[0,1] op_sel_hi:[1,0]
	v_pk_mul_f16 v105, 0x3aee, v106 op_sel_hi:[0,1]
	v_pk_add_f16 v106, v99, v95
	v_pk_add_f16 v99, v99, v95 neg_lo:[0,1] neg_hi:[0,1]
	v_pk_fma_f16 v104, v108, 0.5, v104 op_sel_hi:[1,0,1] neg_lo:[1,0,0] neg_hi:[1,0,0]
	v_pk_add_f16 v181, v98, v100
	v_pk_add_f16 v101, v177, v101
	v_pk_fma_f16 v97, v106, 0.5, v97 op_sel_hi:[1,0,1] neg_lo:[1,0,0] neg_hi:[1,0,0]
	v_pk_mul_f16 v99, 0x3aee, v99 op_sel_hi:[0,1]
	v_bfi_b32 v108, 0xffff, v107, v103
	v_pk_add_f16 v109, v104, v105 op_sel:[0,1] op_sel_hi:[1,0] neg_lo:[0,1] neg_hi:[0,1]
	v_pk_add_f16 v104, v104, v105 op_sel:[0,1] op_sel_hi:[1,0]
	v_pk_add_f16 v102, v178, v102
	v_pk_add_f16 v105, v97, v99 op_sel:[0,1] op_sel_hi:[1,0] neg_lo:[0,1] neg_hi:[0,1]
	v_pk_add_f16 v97, v97, v99 op_sel:[0,1] op_sel_hi:[1,0]
	v_pk_add_f16 v99, v100, v96
	v_pk_add_f16 v100, v100, v96 neg_lo:[0,1] neg_hi:[0,1]
	ds_write2_b32 v139, v101, v108 offset1:1
	v_bfi_b32 v101, 0xffff, v103, v107
	v_bfi_b32 v103, 0xffff, v109, v104
	v_pk_fma_f16 v98, v99, 0.5, v98 op_sel_hi:[1,0,1] neg_lo:[1,0,0] neg_hi:[1,0,0]
	v_pk_mul_f16 v99, 0x3aee, v100 op_sel_hi:[0,1]
	v_bfi_b32 v104, 0xffff, v104, v109
	v_pk_add_f16 v95, v179, v95
	v_bfi_b32 v106, 0xffff, v105, v97
	v_pk_add_f16 v182, v91, v93
	ds_write_b32 v139, v101 offset:8
	ds_write2_b32 v141, v102, v103 offset1:1
	ds_write_b32 v141, v104 offset:8
	ds_write2_b32 v144, v95, v106 offset1:1
	v_pk_add_f16 v95, v98, v99 op_sel:[0,1] op_sel_hi:[1,0] neg_lo:[0,1] neg_hi:[0,1]
	v_pk_add_f16 v98, v98, v99 op_sel:[0,1] op_sel_hi:[1,0]
	v_pk_add_f16 v99, v93, v89
	v_pk_add_f16 v93, v93, v89 neg_lo:[0,1] neg_hi:[0,1]
	v_pk_add_f16 v183, v92, v94
	v_pk_add_f16 v101, v94, v90
	v_pk_add_f16 v94, v94, v90 neg_lo:[0,1] neg_hi:[0,1]
	v_bfi_b32 v97, 0xffff, v97, v105
	v_pk_add_f16 v96, v181, v96
	v_bfi_b32 v100, 0xffff, v95, v98
	v_pk_fma_f16 v91, v99, 0.5, v91 op_sel_hi:[1,0,1] neg_lo:[1,0,0] neg_hi:[1,0,0]
	v_pk_mul_f16 v93, 0x3aee, v93 op_sel_hi:[0,1]
	v_pk_fma_f16 v92, v101, 0.5, v92 op_sel_hi:[1,0,1] neg_lo:[1,0,0] neg_hi:[1,0,0]
	v_pk_mul_f16 v94, 0x3aee, v94 op_sel_hi:[0,1]
	ds_write_b32 v144, v97 offset:8
	ds_write2_b32 v142, v96, v100 offset1:1
	v_pk_add_f16 v96, v91, v93 op_sel:[0,1] op_sel_hi:[1,0] neg_lo:[0,1] neg_hi:[0,1]
	v_pk_add_f16 v91, v91, v93 op_sel:[0,1] op_sel_hi:[1,0]
	v_bfi_b32 v93, 0xffff, v98, v95
	v_pk_add_f16 v95, v92, v94 op_sel:[0,1] op_sel_hi:[1,0] neg_lo:[0,1] neg_hi:[0,1]
	v_pk_add_f16 v92, v92, v94 op_sel:[0,1] op_sel_hi:[1,0]
	v_add_f16_e32 v172, v169, v172
	v_fmamk_f16 v171, v184, 0xbaee, v174
	v_fmac_f16_e32 v174, 0x3aee, v184
	v_fmamk_f16 v169, v180, 0x3aee, v175
	v_fmac_f16_e32 v175, 0xbaee, v180
	v_pk_add_f16 v89, v182, v89
	v_bfi_b32 v94, 0xffff, v96, v91
	v_bfi_b32 v91, 0xffff, v91, v96
	v_pk_add_f16 v90, v183, v90
	v_bfi_b32 v96, 0xffff, v95, v92
	v_bfi_b32 v92, 0xffff, v92, v95
	ds_write_b32 v142, v93 offset:8
	ds_write2_b32 v145, v89, v94 offset1:1
	ds_write_b32 v145, v91 offset:8
	ds_write2_b32 v147, v90, v96 offset1:1
	ds_write_b32 v147, v92 offset:8
	s_and_saveexec_b32 s1, vcc_lo
	s_cbranch_execz .LBB0_21
; %bb.20:
	v_lshlrev_b32_e32 v89, 2, v146
	v_perm_b32 v90, v169, v171, 0x5040100
	v_perm_b32 v91, v168, v172, 0x5040100
	;; [unrolled: 1-line block ×3, first 2 shown]
	ds_write2_b32 v89, v91, v90 offset1:1
	ds_write_b32 v89, v92 offset:8
.LBB0_21:
	s_or_b32 exec_lo, exec_lo, s1
	v_add_nc_u32_e32 v89, 0x800, v113
	v_add_nc_u32_e32 v90, 0x1000, v113
	s_waitcnt lgkmcnt(0)
	s_barrier
	buffer_gl0_inv
	ds_read2_b32 v[95:96], v113 offset1:63
	ds_read2_b32 v[111:112], v89 offset0:13 offset1:76
	ds_read2_b32 v[109:110], v90 offset0:26 offset1:89
	ds_read2_b32 v[91:92], v113 offset0:126 offset1:189
	ds_read2_b32 v[105:106], v89 offset0:139 offset1:202
	v_add_nc_u32_e32 v89, 0x200, v113
	v_add_nc_u32_e32 v97, 0xc00, v113
	;; [unrolled: 1-line block ×4, first 2 shown]
	ds_read2_b32 v[107:108], v90 offset0:152 offset1:215
	ds_read2_b32 v[93:94], v89 offset0:124 offset1:187
	;; [unrolled: 1-line block ×7, first 2 shown]
	s_and_saveexec_b32 s1, vcc_lo
	s_cbranch_execz .LBB0_23
; %bb.22:
	ds_read_b32 v172, v113 offset:2016
	ds_read_b32 v171, v113 offset:4116
	;; [unrolled: 1-line block ×3, first 2 shown]
	s_waitcnt lgkmcnt(2)
	v_lshrrev_b32_e32 v168, 16, v172
	s_waitcnt lgkmcnt(1)
	v_lshrrev_b32_e32 v169, 16, v171
	;; [unrolled: 2-line block ×3, first 2 shown]
.LBB0_23:
	s_or_b32 exec_lo, exec_lo, s1
	s_waitcnt lgkmcnt(10)
	v_lshrrev_b32_e32 v140, 16, v111
	s_waitcnt lgkmcnt(9)
	v_lshrrev_b32_e32 v141, 16, v109
	v_lshrrev_b32_e32 v143, 16, v112
	;; [unrolled: 1-line block ×3, first 2 shown]
	v_mul_f16_sdwa v189, v65, v111 dst_sel:DWORD dst_unused:UNUSED_PAD src0_sel:WORD_1 src1_sel:DWORD
	v_mul_f16_sdwa v188, v65, v140 dst_sel:DWORD dst_unused:UNUSED_PAD src0_sel:WORD_1 src1_sel:DWORD
	;; [unrolled: 1-line block ×4, first 2 shown]
	s_waitcnt lgkmcnt(7)
	v_lshrrev_b32_e32 v146, 16, v105
	v_lshrrev_b32_e32 v173, 16, v106
	v_fmac_f16_e32 v188, v65, v111
	v_fma_f16 v111, v65, v140, -v189
	v_fmac_f16_e32 v190, v66, v109
	v_mul_f16_sdwa v109, v69, v143 dst_sel:DWORD dst_unused:UNUSED_PAD src0_sel:WORD_1 src1_sel:DWORD
	v_fma_f16 v140, v66, v141, -v192
	v_mul_f16_sdwa v65, v69, v112 dst_sel:DWORD dst_unused:UNUSED_PAD src0_sel:WORD_1 src1_sel:DWORD
	v_mul_f16_sdwa v141, v70, v144 dst_sel:DWORD dst_unused:UNUSED_PAD src0_sel:WORD_1 src1_sel:DWORD
	s_waitcnt lgkmcnt(6)
	v_lshrrev_b32_e32 v147, 16, v107
	v_lshrrev_b32_e32 v176, 16, v108
	v_mul_f16_sdwa v66, v70, v110 dst_sel:DWORD dst_unused:UNUSED_PAD src0_sel:WORD_1 src1_sel:DWORD
	v_fmac_f16_e32 v109, v69, v112
	v_mul_f16_sdwa v112, v67, v146 dst_sel:DWORD dst_unused:UNUSED_PAD src0_sel:WORD_1 src1_sel:DWORD
	v_fma_f16 v69, v69, v143, -v65
	v_fmac_f16_e32 v141, v70, v110
	v_mul_f16_sdwa v65, v67, v105 dst_sel:DWORD dst_unused:UNUSED_PAD src0_sel:WORD_1 src1_sel:DWORD
	v_mul_f16_sdwa v110, v63, v173 dst_sel:DWORD dst_unused:UNUSED_PAD src0_sel:WORD_1 src1_sel:DWORD
	s_waitcnt lgkmcnt(4)
	v_lshrrev_b32_e32 v178, 16, v103
	s_waitcnt lgkmcnt(3)
	v_lshrrev_b32_e32 v179, 16, v101
	v_fma_f16 v70, v70, v144, -v66
	v_fmac_f16_e32 v112, v67, v105
	v_mul_f16_sdwa v105, v68, v147 dst_sel:DWORD dst_unused:UNUSED_PAD src0_sel:WORD_1 src1_sel:DWORD
	v_mul_f16_sdwa v66, v68, v107 dst_sel:DWORD dst_unused:UNUSED_PAD src0_sel:WORD_1 src1_sel:DWORD
	v_fma_f16 v143, v67, v146, -v65
	v_mul_f16_sdwa v65, v63, v106 dst_sel:DWORD dst_unused:UNUSED_PAD src0_sel:WORD_1 src1_sel:DWORD
	v_fmac_f16_e32 v110, v63, v106
	v_mul_f16_sdwa v106, v64, v176 dst_sel:DWORD dst_unused:UNUSED_PAD src0_sel:WORD_1 src1_sel:DWORD
	v_lshrrev_b32_e32 v181, 16, v104
	v_lshrrev_b32_e32 v182, 16, v102
	v_fmac_f16_e32 v105, v68, v107
	v_fma_f16 v107, v68, v147, -v66
	v_fma_f16 v63, v63, v173, -v65
	v_mul_f16_sdwa v65, v64, v108 dst_sel:DWORD dst_unused:UNUSED_PAD src0_sel:WORD_1 src1_sel:DWORD
	v_mul_f16_sdwa v144, v71, v178 dst_sel:DWORD dst_unused:UNUSED_PAD src0_sel:WORD_1 src1_sel:DWORD
	;; [unrolled: 1-line block ×3, first 2 shown]
	v_fmac_f16_e32 v106, v64, v108
	v_mul_f16_sdwa v108, v72, v179 dst_sel:DWORD dst_unused:UNUSED_PAD src0_sel:WORD_1 src1_sel:DWORD
	s_waitcnt lgkmcnt(1)
	v_lshrrev_b32_e32 v184, 16, v99
	s_waitcnt lgkmcnt(0)
	v_lshrrev_b32_e32 v185, 16, v97
	v_fma_f16 v64, v64, v176, -v65
	v_fmac_f16_e32 v144, v71, v103
	v_fma_f16 v71, v71, v178, -v66
	v_mul_f16_sdwa v65, v72, v101 dst_sel:DWORD dst_unused:UNUSED_PAD src0_sel:WORD_1 src1_sel:DWORD
	v_fmac_f16_e32 v108, v72, v101
	v_mul_f16_sdwa v101, v73, v181 dst_sel:DWORD dst_unused:UNUSED_PAD src0_sel:WORD_1 src1_sel:DWORD
	v_mul_f16_sdwa v66, v73, v104 dst_sel:DWORD dst_unused:UNUSED_PAD src0_sel:WORD_1 src1_sel:DWORD
	;; [unrolled: 1-line block ×3, first 2 shown]
	v_lshrrev_b32_e32 v187, 16, v100
	v_fma_f16 v72, v72, v179, -v65
	v_mul_f16_sdwa v65, v74, v102 dst_sel:DWORD dst_unused:UNUSED_PAD src0_sel:WORD_1 src1_sel:DWORD
	v_fmac_f16_e32 v101, v73, v104
	v_fma_f16 v73, v73, v181, -v66
	v_fmac_f16_e32 v103, v74, v102
	v_mul_f16_sdwa v102, v81, v184 dst_sel:DWORD dst_unused:UNUSED_PAD src0_sel:WORD_1 src1_sel:DWORD
	v_mul_f16_sdwa v104, v82, v185 dst_sel:DWORD dst_unused:UNUSED_PAD src0_sel:WORD_1 src1_sel:DWORD
	;; [unrolled: 1-line block ×3, first 2 shown]
	v_lshrrev_b32_e32 v191, 16, v98
	v_fma_f16 v74, v74, v182, -v65
	v_mul_f16_sdwa v65, v81, v99 dst_sel:DWORD dst_unused:UNUSED_PAD src0_sel:WORD_1 src1_sel:DWORD
	v_fmac_f16_e32 v102, v81, v99
	v_mul_f16_sdwa v99, v79, v187 dst_sel:DWORD dst_unused:UNUSED_PAD src0_sel:WORD_1 src1_sel:DWORD
	v_fmac_f16_e32 v104, v82, v97
	v_fma_f16 v82, v82, v185, -v66
	v_mul_f16_sdwa v66, v79, v100 dst_sel:DWORD dst_unused:UNUSED_PAD src0_sel:WORD_1 src1_sel:DWORD
	v_fma_f16 v81, v81, v184, -v65
	v_fmac_f16_e32 v99, v79, v100
	v_mul_f16_sdwa v97, v80, v191 dst_sel:DWORD dst_unused:UNUSED_PAD src0_sel:WORD_1 src1_sel:DWORD
	v_mul_f16_sdwa v67, v80, v98 dst_sel:DWORD dst_unused:UNUSED_PAD src0_sel:WORD_1 src1_sel:DWORD
	;; [unrolled: 1-line block ×3, first 2 shown]
	v_fma_f16 v79, v79, v187, -v66
	v_mul_f16_sdwa v66, v75, v171 dst_sel:DWORD dst_unused:UNUSED_PAD src0_sel:WORD_1 src1_sel:DWORD
	v_add_f16_e32 v68, v188, v190
	v_lshrrev_b32_e32 v139, 16, v95
	v_fmac_f16_e32 v97, v80, v98
	v_fma_f16 v80, v80, v191, -v67
	v_fmac_f16_e32 v65, v75, v171
	v_fma_f16 v67, v75, v169, -v66
	v_mul_f16_sdwa v66, v76, v175 dst_sel:DWORD dst_unused:UNUSED_PAD src0_sel:WORD_1 src1_sel:DWORD
	v_mul_f16_sdwa v75, v76, v174 dst_sel:DWORD dst_unused:UNUSED_PAD src0_sel:WORD_1 src1_sel:DWORD
	v_add_f16_e32 v98, v95, v188
	v_fma_f16 v95, -0.5, v68, v95
	v_sub_f16_e32 v100, v111, v140
	v_fmac_f16_e32 v66, v76, v174
	v_fma_f16 v68, v76, v175, -v75
	v_add_f16_e32 v75, v98, v190
	v_add_f16_e32 v76, v111, v140
	v_fmamk_f16 v98, v100, 0xbaee, v95
	v_add_f16_e32 v111, v139, v111
	v_fmac_f16_e32 v95, 0x3aee, v100
	v_add_f16_e32 v100, v109, v141
	v_lshrrev_b32_e32 v142, 16, v96
	v_fmac_f16_e32 v139, -0.5, v76
	v_sub_f16_e32 v76, v188, v190
	v_add_f16_e32 v111, v111, v140
	v_add_f16_e32 v140, v96, v109
	v_fmac_f16_e32 v96, -0.5, v100
	v_sub_f16_e32 v100, v69, v70
	v_fmamk_f16 v146, v76, 0x3aee, v139
	v_fmac_f16_e32 v139, 0xbaee, v76
	v_add_f16_e32 v76, v140, v141
	v_add_f16_e32 v140, v69, v70
	v_fmamk_f16 v147, v100, 0xbaee, v96
	v_add_f16_e32 v69, v142, v69
	v_fmac_f16_e32 v96, 0x3aee, v100
	v_add_f16_e32 v100, v112, v105
	v_lshrrev_b32_e32 v145, 16, v91
	v_fmac_f16_e32 v142, -0.5, v140
	v_sub_f16_e32 v109, v109, v141
	v_add_f16_e32 v69, v69, v70
	v_add_f16_e32 v70, v91, v112
	v_fma_f16 v91, -0.5, v100, v91
	v_sub_f16_e32 v100, v143, v107
	v_fmamk_f16 v140, v109, 0x3aee, v142
	v_fmac_f16_e32 v142, 0xbaee, v109
	v_add_f16_e32 v109, v143, v107
	v_lshrrev_b32_e32 v170, 16, v92
	v_fmamk_f16 v141, v100, 0xbaee, v91
	v_fmac_f16_e32 v91, 0x3aee, v100
	v_add_f16_e32 v100, v110, v106
	v_add_f16_e32 v70, v70, v105
	;; [unrolled: 1-line block ×3, first 2 shown]
	v_fmac_f16_e32 v145, -0.5, v109
	v_sub_f16_e32 v105, v112, v105
	v_add_f16_e32 v109, v92, v110
	v_fmac_f16_e32 v92, -0.5, v100
	v_sub_f16_e32 v100, v63, v64
	v_add_f16_e32 v107, v143, v107
	v_fmamk_f16 v112, v105, 0x3aee, v145
	v_fmac_f16_e32 v145, 0xbaee, v105
	v_add_f16_e32 v105, v109, v106
	v_add_f16_e32 v109, v63, v64
	v_fmamk_f16 v143, v100, 0xbaee, v92
	v_add_f16_e32 v63, v170, v63
	v_fmac_f16_e32 v92, 0x3aee, v100
	v_add_f16_e32 v100, v144, v108
	v_lshrrev_b32_e32 v177, 16, v93
	v_fmac_f16_e32 v170, -0.5, v109
	v_sub_f16_e32 v106, v110, v106
	v_add_f16_e32 v109, v63, v64
	v_add_f16_e32 v63, v93, v144
	v_fma_f16 v93, -0.5, v100, v93
	v_sub_f16_e32 v64, v71, v72
	v_fmamk_f16 v100, v106, 0x3aee, v170
	v_fmac_f16_e32 v170, 0xbaee, v106
	v_add_f16_e32 v106, v63, v108
	v_add_f16_e32 v63, v71, v72
	v_fmamk_f16 v110, v64, 0xbaee, v93
	v_add_f16_e32 v71, v177, v71
	v_fmac_f16_e32 v93, 0x3aee, v64
	v_add_f16_e32 v64, v101, v103
	v_lshrrev_b32_e32 v180, 16, v94
	v_fmac_f16_e32 v177, -0.5, v63
	v_sub_f16_e32 v63, v144, v108
	v_add_f16_e32 v108, v71, v72
	v_add_f16_e32 v71, v94, v101
	v_fmac_f16_e32 v94, -0.5, v64
	v_sub_f16_e32 v64, v73, v74
	v_fmamk_f16 v144, v63, 0x3aee, v177
	v_fmac_f16_e32 v177, 0xbaee, v63
	v_add_f16_e32 v169, v71, v103
	v_add_f16_e32 v63, v73, v74
	v_fmamk_f16 v171, v64, 0xbaee, v94
	v_add_f16_e32 v71, v180, v73
	v_fmac_f16_e32 v94, 0x3aee, v64
	v_add_f16_e32 v64, v102, v104
	v_lshrrev_b32_e32 v183, 16, v89
	v_fmac_f16_e32 v180, -0.5, v63
	v_sub_f16_e32 v63, v101, v103
	v_add_f16_e32 v73, v71, v74
	v_add_f16_e32 v71, v89, v102
	v_fma_f16 v74, -0.5, v64, v89
	v_sub_f16_e32 v64, v81, v82
	v_fmamk_f16 v89, v63, 0x3aee, v180
	v_fmac_f16_e32 v180, 0xbaee, v63
	v_add_f16_e32 v101, v71, v104
	v_add_f16_e32 v63, v81, v82
	v_fmamk_f16 v103, v64, 0xbaee, v74
	v_add_f16_e32 v71, v183, v81
	v_fmac_f16_e32 v74, 0x3aee, v64
	v_add_f16_e32 v64, v99, v97
	v_lshrrev_b32_e32 v186, 16, v90
	v_fmac_f16_e32 v183, -0.5, v63
	v_sub_f16_e32 v63, v102, v104
	v_add_f16_e32 v81, v71, v82
	v_add_f16_e32 v71, v90, v99
	v_fmac_f16_e32 v90, -0.5, v64
	v_sub_f16_e32 v64, v79, v80
	v_fmamk_f16 v82, v63, 0x3aee, v183
	v_fmac_f16_e32 v183, 0xbaee, v63
	v_add_f16_e32 v63, v186, v79
	v_add_f16_e32 v102, v71, v97
	v_fmamk_f16 v104, v64, 0xbaee, v90
	v_fmac_f16_e32 v90, 0x3aee, v64
	v_add_f16_e32 v64, v66, v65
	v_add_f16_e32 v71, v79, v80
	;; [unrolled: 1-line block ×4, first 2 shown]
	v_sub_f16_e32 v80, v67, v68
	v_fma_f16 v64, -0.5, v64, v172
	v_fmac_f16_e32 v186, -0.5, v71
	v_pack_b32_f16 v75, v75, v111
	v_fma_f16 v71, -0.5, v63, v168
	v_fmamk_f16 v63, v80, 0xbaee, v64
	v_fmac_f16_e32 v64, 0x3aee, v80
	v_pack_b32_f16 v80, v98, v146
	s_barrier
	buffer_gl0_inv
	v_pack_b32_f16 v69, v76, v69
	v_pack_b32_f16 v76, v147, v140
	ds_write2_b32 v157, v75, v80 offset1:3
	v_pack_b32_f16 v75, v95, v139
	v_pack_b32_f16 v80, v96, v142
	v_sub_f16_e32 v72, v99, v97
	v_pack_b32_f16 v70, v70, v107
	v_pack_b32_f16 v95, v141, v112
	;; [unrolled: 1-line block ×3, first 2 shown]
	v_sub_f16_e32 v97, v65, v66
	ds_write_b32 v157, v75 offset:24
	ds_write2_b32 v156, v69, v76 offset1:3
	ds_write_b32 v156, v80 offset:24
	ds_write2_b32 v155, v70, v95 offset1:3
	ds_write_b32 v155, v91 offset:24
	v_pack_b32_f16 v69, v105, v109
	v_pack_b32_f16 v70, v143, v100
	;; [unrolled: 1-line block ×5, first 2 shown]
	v_fmamk_f16 v99, v72, 0x3aee, v186
	v_pack_b32_f16 v91, v93, v177
	v_fmac_f16_e32 v186, 0xbaee, v72
	v_pack_b32_f16 v73, v169, v73
	v_pack_b32_f16 v89, v171, v89
	v_fmamk_f16 v72, v97, 0x3aee, v71
	v_fmac_f16_e32 v71, 0xbaee, v97
	ds_write2_b32 v153, v69, v70 offset1:3
	ds_write_b32 v153, v75 offset:24
	ds_write2_b32 v154, v76, v80 offset1:3
	ds_write_b32 v154, v91 offset:24
	ds_write2_b32 v152, v73, v89 offset1:3
	v_pack_b32_f16 v69, v94, v180
	v_pack_b32_f16 v70, v101, v81
	;; [unrolled: 1-line block ×7, first 2 shown]
	ds_write_b32 v152, v69 offset:24
	ds_write2_b32 v151, v70, v73 offset1:3
	ds_write_b32 v151, v74 offset:24
	ds_write2_b32 v150, v75, v76 offset1:3
	ds_write_b32 v150, v79 offset:24
	s_and_saveexec_b32 s1, vcc_lo
	s_cbranch_execz .LBB0_25
; %bb.24:
	v_add_f16_e32 v67, v168, v67
	v_add_f16_e32 v65, v172, v65
	v_mov_b32_e32 v69, 2
	v_add_f16_e32 v67, v68, v67
	v_add_f16_e32 v65, v66, v65
	v_perm_b32 v66, v72, v63, 0x5040100
	v_lshlrev_b32_sdwa v68, v69, v149 dst_sel:DWORD dst_unused:UNUSED_PAD src0_sel:DWORD src1_sel:WORD_0
	v_pack_b32_f16 v65, v65, v67
	v_perm_b32 v67, v71, v64, 0x5040100
	ds_write2_b32 v68, v65, v66 offset1:3
	ds_write_b32 v68, v67 offset:24
.LBB0_25:
	s_or_b32 exec_lo, exec_lo, s1
	v_add_nc_u32_e32 v65, 0x200, v113
	v_add_nc_u32_e32 v74, 0x800, v113
	;; [unrolled: 1-line block ×3, first 2 shown]
	s_waitcnt lgkmcnt(0)
	s_barrier
	buffer_gl0_inv
	ds_read2_b32 v[67:68], v113 offset1:63
	ds_read2_b32 v[65:66], v65 offset0:124 offset1:187
	ds_read2_b32 v[93:94], v74 offset0:118 offset1:181
	;; [unrolled: 1-line block ×3, first 2 shown]
	v_add_nc_u32_e32 v69, 0x1200, v113
	v_add_nc_u32_e32 v76, 0x400, v113
	;; [unrolled: 1-line block ×5, first 2 shown]
	ds_read2_b32 v[97:98], v69 offset0:108 offset1:171
	v_add_nc_u32_e32 v69, 0xe00, v113
	ds_read2_b32 v[99:100], v76 offset0:122 offset1:185
	v_add_nc_u32_e32 v81, 0x1000, v113
	ds_read2_b32 v[103:104], v79 offset0:116 offset1:179
	ds_read2_b32 v[101:102], v69 offset0:112 offset1:175
	;; [unrolled: 1-line block ×6, first 2 shown]
	ds_read_b32 v141, v113 offset:6048
	s_waitcnt lgkmcnt(0)
	s_barrier
	v_lshrrev_b32_e32 v111, 16, v66
	v_lshrrev_b32_e32 v112, 16, v93
	;; [unrolled: 1-line block ×4, first 2 shown]
	v_mul_f16_sdwa v171, v21, v93 dst_sel:DWORD dst_unused:UNUSED_PAD src0_sel:WORD_1 src1_sel:DWORD
	v_mul_f16_sdwa v155, v20, v111 dst_sel:DWORD dst_unused:UNUSED_PAD src0_sel:WORD_1 src1_sel:DWORD
	;; [unrolled: 1-line block ×4, first 2 shown]
	v_lshrrev_b32_e32 v140, 16, v97
	v_mul_f16_sdwa v173, v22, v96 dst_sel:DWORD dst_unused:UNUSED_PAD src0_sel:WORD_1 src1_sel:DWORD
	v_lshrrev_b32_e32 v142, 16, v99
	v_fmac_f16_e32 v155, v20, v66
	v_mul_f16_sdwa v66, v20, v66 dst_sel:DWORD dst_unused:UNUSED_PAD src0_sel:WORD_1 src1_sel:DWORD
	v_fmac_f16_e32 v170, v21, v93
	v_lshrrev_b32_e32 v144, 16, v101
	v_fma_f16 v21, v21, v112, -v171
	v_fmac_f16_e32 v172, v22, v96
	v_fma_f16 v20, v20, v111, -v66
	v_mul_f16_sdwa v66, v23, v140 dst_sel:DWORD dst_unused:UNUSED_PAD src0_sel:WORD_1 src1_sel:DWORD
	v_mul_f16_sdwa v93, v23, v97 dst_sel:DWORD dst_unused:UNUSED_PAD src0_sel:WORD_1 src1_sel:DWORD
	;; [unrolled: 1-line block ×5, first 2 shown]
	v_lshrrev_b32_e32 v145, 16, v98
	v_lshrrev_b32_e32 v146, 16, v100
	v_fmac_f16_e32 v66, v23, v97
	v_fma_f16 v23, v23, v140, -v93
	v_fmac_f16_e32 v96, v16, v99
	v_fma_f16 v93, v16, v142, -v111
	v_fmac_f16_e32 v112, v17, v94
	v_mul_f16_sdwa v16, v17, v94 dst_sel:DWORD dst_unused:UNUSED_PAD src0_sel:WORD_1 src1_sel:DWORD
	v_mul_f16_sdwa v94, v18, v144 dst_sel:DWORD dst_unused:UNUSED_PAD src0_sel:WORD_1 src1_sel:DWORD
	;; [unrolled: 1-line block ×3, first 2 shown]
	v_lshrrev_b32_e32 v151, 16, v107
	v_fma_f16 v22, v22, v139, -v173
	v_mul_f16_sdwa v99, v19, v145 dst_sel:DWORD dst_unused:UNUSED_PAD src0_sel:WORD_1 src1_sel:DWORD
	v_mul_f16_sdwa v111, v19, v98 dst_sel:DWORD dst_unused:UNUSED_PAD src0_sel:WORD_1 src1_sel:DWORD
	v_fma_f16 v139, v17, v143, -v16
	v_fmac_f16_e32 v94, v18, v101
	v_fma_f16 v18, v18, v144, -v97
	v_mul_f16_sdwa v97, v12, v146 dst_sel:DWORD dst_unused:UNUSED_PAD src0_sel:WORD_1 src1_sel:DWORD
	v_mul_f16_sdwa v16, v12, v100 dst_sel:DWORD dst_unused:UNUSED_PAD src0_sel:WORD_1 src1_sel:DWORD
	v_lshrrev_b32_e32 v147, 16, v103
	v_lshrrev_b32_e32 v149, 16, v102
	v_lshrrev_b32_e32 v152, 16, v104
	v_lshrrev_b32_e32 v153, 16, v109
	v_fmac_f16_e32 v99, v19, v98
	v_fma_f16 v19, v19, v145, -v111
	v_fmac_f16_e32 v97, v12, v100
	v_fma_f16 v100, v12, v146, -v16
	v_mul_f16_sdwa v12, v14, v102 dst_sel:DWORD dst_unused:UNUSED_PAD src0_sel:WORD_1 src1_sel:DWORD
	v_mul_f16_sdwa v111, v8, v151 dst_sel:DWORD dst_unused:UNUSED_PAD src0_sel:WORD_1 src1_sel:DWORD
	;; [unrolled: 1-line block ×3, first 2 shown]
	v_lshrrev_b32_e32 v150, 16, v105
	v_lshrrev_b32_e32 v154, 16, v106
	;; [unrolled: 1-line block ×3, first 2 shown]
	v_mul_f16_sdwa v98, v13, v147 dst_sel:DWORD dst_unused:UNUSED_PAD src0_sel:WORD_1 src1_sel:DWORD
	v_mul_f16_sdwa v17, v13, v103 dst_sel:DWORD dst_unused:UNUSED_PAD src0_sel:WORD_1 src1_sel:DWORD
	;; [unrolled: 1-line block ×3, first 2 shown]
	v_fma_f16 v140, v14, v149, -v12
	v_fmac_f16_e32 v111, v8, v107
	v_fma_f16 v107, v8, v151, -v16
	v_mul_f16_sdwa v142, v9, v152 dst_sel:DWORD dst_unused:UNUSED_PAD src0_sel:WORD_1 src1_sel:DWORD
	v_mul_f16_sdwa v8, v9, v104 dst_sel:DWORD dst_unused:UNUSED_PAD src0_sel:WORD_1 src1_sel:DWORD
	;; [unrolled: 1-line block ×4, first 2 shown]
	v_lshrrev_b32_e32 v156, 16, v108
	v_fmac_f16_e32 v98, v13, v103
	v_fma_f16 v103, v13, v147, -v17
	v_fmac_f16_e32 v101, v14, v102
	v_mul_f16_sdwa v102, v15, v150 dst_sel:DWORD dst_unused:UNUSED_PAD src0_sel:WORD_1 src1_sel:DWORD
	v_mul_f16_sdwa v13, v15, v105 dst_sel:DWORD dst_unused:UNUSED_PAD src0_sel:WORD_1 src1_sel:DWORD
	;; [unrolled: 1-line block ×3, first 2 shown]
	v_fmac_f16_e32 v142, v9, v104
	v_fma_f16 v104, v9, v152, -v8
	v_fmac_f16_e32 v143, v10, v109
	v_fma_f16 v109, v10, v153, -v12
	v_mul_f16_sdwa v8, v11, v106 dst_sel:DWORD dst_unused:UNUSED_PAD src0_sel:WORD_1 src1_sel:DWORD
	v_mul_f16_sdwa v12, v5, v157 dst_sel:DWORD dst_unused:UNUSED_PAD src0_sel:WORD_1 src1_sel:DWORD
	v_mul_f16_sdwa v10, v5, v95 dst_sel:DWORD dst_unused:UNUSED_PAD src0_sel:WORD_1 src1_sel:DWORD
	v_lshrrev_b32_e32 v168, 16, v110
	v_lshrrev_b32_e32 v169, 16, v141
	v_fmac_f16_e32 v102, v15, v105
	v_fma_f16 v105, v15, v150, -v13
	v_fmac_f16_e32 v144, v11, v106
	v_mul_f16_sdwa v13, v4, v156 dst_sel:DWORD dst_unused:UNUSED_PAD src0_sel:WORD_1 src1_sel:DWORD
	v_mul_f16_sdwa v9, v4, v108 dst_sel:DWORD dst_unused:UNUSED_PAD src0_sel:WORD_1 src1_sel:DWORD
	v_fma_f16 v106, v11, v154, -v8
	v_fmac_f16_e32 v12, v5, v95
	v_fma_f16 v10, v5, v157, -v10
	v_mul_f16_sdwa v5, v6, v110 dst_sel:DWORD dst_unused:UNUSED_PAD src0_sel:WORD_1 src1_sel:DWORD
	v_add_f16_e32 v11, v67, v155
	v_fmac_f16_e32 v13, v4, v108
	v_fma_f16 v9, v4, v156, -v9
	v_add_f16_e32 v4, v170, v172
	v_mul_f16_sdwa v16, v6, v168 dst_sel:DWORD dst_unused:UNUSED_PAD src0_sel:WORD_1 src1_sel:DWORD
	v_mul_f16_sdwa v95, v7, v169 dst_sel:DWORD dst_unused:UNUSED_PAD src0_sel:WORD_1 src1_sel:DWORD
	v_fma_f16 v14, v6, v168, -v5
	v_add_f16_e32 v5, v11, v170
	v_sub_f16_e32 v11, v155, v170
	v_sub_f16_e32 v15, v66, v172
	v_add_f16_e32 v17, v155, v66
	v_lshrrev_b32_e32 v92, 16, v67
	v_fma_f16 v8, -0.5, v4, v67
	v_sub_f16_e32 v4, v20, v23
	v_fmac_f16_e32 v16, v6, v110
	v_fmac_f16_e32 v95, v7, v141
	v_sub_f16_e32 v108, v21, v22
	v_mul_f16_sdwa v110, v7, v141 dst_sel:DWORD dst_unused:UNUSED_PAD src0_sel:WORD_1 src1_sel:DWORD
	v_add_f16_e32 v5, v5, v172
	v_add_f16_e32 v141, v11, v15
	v_fma_f16 v11, -0.5, v17, v67
	v_fmamk_f16 v6, v4, 0xbb9c, v8
	v_fma_f16 v17, v7, v169, -v110
	v_add_f16_e32 v7, v5, v66
	v_fmac_f16_e32 v8, 0x3b9c, v4
	v_fmamk_f16 v15, v108, 0x3b9c, v11
	v_sub_f16_e32 v5, v170, v155
	v_sub_f16_e32 v67, v172, v66
	v_add_f16_e32 v110, v92, v20
	v_add_f16_e32 v145, v21, v22
	v_fmac_f16_e32 v11, 0xbb9c, v108
	v_fmac_f16_e32 v6, 0xb8b4, v108
	;; [unrolled: 1-line block ×4, first 2 shown]
	v_add_f16_e32 v5, v5, v67
	v_add_f16_e32 v67, v110, v21
	v_fma_f16 v108, -0.5, v145, v92
	v_sub_f16_e32 v66, v155, v66
	v_fmac_f16_e32 v11, 0x38b4, v4
	v_fmac_f16_e32 v6, 0x34f2, v141
	;; [unrolled: 1-line block ×4, first 2 shown]
	v_add_f16_e32 v4, v67, v22
	v_fmamk_f16 v67, v66, 0x3b9c, v108
	v_add_f16_e32 v110, v20, v23
	v_sub_f16_e32 v141, v170, v172
	v_sub_f16_e32 v145, v20, v21
	;; [unrolled: 1-line block ×3, first 2 shown]
	v_fmac_f16_e32 v11, 0x34f2, v5
	v_fmac_f16_e32 v108, 0xbb9c, v66
	v_sub_f16_e32 v5, v21, v20
	v_sub_f16_e32 v20, v22, v23
	v_fmac_f16_e32 v92, -0.5, v110
	v_add_f16_e32 v110, v4, v23
	v_fmac_f16_e32 v67, 0x38b4, v141
	v_add_f16_e32 v4, v145, v146
	v_fmac_f16_e32 v108, 0xb8b4, v141
	v_add_f16_e32 v5, v5, v20
	v_add_f16_e32 v20, v68, v96
	v_fmamk_f16 v145, v141, 0xbb9c, v92
	v_fmac_f16_e32 v67, 0x34f2, v4
	v_fmac_f16_e32 v108, 0x34f2, v4
	;; [unrolled: 1-line block ×3, first 2 shown]
	v_add_f16_e32 v4, v20, v112
	v_lshrrev_b32_e32 v90, 16, v68
	v_add_f16_e32 v21, v112, v94
	v_fmac_f16_e32 v145, 0x38b4, v66
	v_sub_f16_e32 v141, v96, v112
	v_sub_f16_e32 v146, v99, v94
	v_add_f16_e32 v147, v96, v99
	v_fmac_f16_e32 v92, 0xb8b4, v66
	v_add_f16_e32 v4, v4, v94
	v_fma_f16 v21, -0.5, v21, v68
	v_sub_f16_e32 v22, v93, v19
	v_fmac_f16_e32 v145, 0x34f2, v5
	v_add_f16_e32 v66, v141, v146
	v_fmac_f16_e32 v68, -0.5, v147
	v_fmac_f16_e32 v92, 0x34f2, v5
	v_add_f16_e32 v141, v4, v99
	v_sub_f16_e32 v4, v112, v96
	v_sub_f16_e32 v5, v94, v99
	v_add_f16_e32 v147, v90, v93
	v_fmamk_f16 v20, v22, 0xbb9c, v21
	v_sub_f16_e32 v23, v139, v18
	v_fmac_f16_e32 v21, 0x3b9c, v22
	v_add_f16_e32 v149, v139, v18
	v_add_f16_e32 v4, v4, v5
	;; [unrolled: 1-line block ×3, first 2 shown]
	v_fmac_f16_e32 v20, 0xb8b4, v23
	v_fmamk_f16 v146, v23, 0x3b9c, v68
	v_fmac_f16_e32 v21, 0x38b4, v23
	v_fmac_f16_e32 v68, 0xbb9c, v23
	v_fma_f16 v23, -0.5, v149, v90
	v_sub_f16_e32 v96, v96, v99
	v_add_f16_e32 v5, v5, v18
	v_fmac_f16_e32 v20, 0x34f2, v66
	v_fmac_f16_e32 v146, 0xb8b4, v22
	v_fmac_f16_e32 v21, 0x34f2, v66
	v_fmac_f16_e32 v68, 0x38b4, v22
	v_fmamk_f16 v22, v96, 0x3b9c, v23
	v_add_f16_e32 v66, v93, v19
	v_sub_f16_e32 v94, v112, v94
	v_sub_f16_e32 v99, v93, v139
	;; [unrolled: 1-line block ×3, first 2 shown]
	v_add_f16_e32 v147, v5, v19
	v_fmac_f16_e32 v23, 0xbb9c, v96
	v_sub_f16_e32 v5, v139, v93
	v_sub_f16_e32 v18, v18, v19
	v_fmac_f16_e32 v146, 0x34f2, v4
	v_fmac_f16_e32 v68, 0x34f2, v4
	v_fmac_f16_e32 v90, -0.5, v66
	v_fmac_f16_e32 v22, 0x38b4, v94
	v_add_f16_e32 v4, v99, v112
	v_fmac_f16_e32 v23, 0xb8b4, v94
	v_add_f16_e32 v5, v5, v18
	v_add_f16_e32 v18, v69, v97
	v_fmamk_f16 v99, v94, 0xbb9c, v90
	v_fmac_f16_e32 v22, 0x34f2, v4
	v_fmac_f16_e32 v23, 0x34f2, v4
	v_fmac_f16_e32 v90, 0x3b9c, v94
	v_add_f16_e32 v4, v18, v98
	v_lshrrev_b32_e32 v91, 16, v69
	v_add_f16_e32 v19, v98, v101
	v_fmac_f16_e32 v99, 0x38b4, v96
	v_sub_f16_e32 v94, v97, v98
	v_sub_f16_e32 v112, v102, v101
	v_add_f16_e32 v139, v97, v102
	v_fmac_f16_e32 v90, 0xb8b4, v96
	v_add_f16_e32 v4, v4, v101
	v_fma_f16 v19, -0.5, v19, v69
	v_sub_f16_e32 v66, v100, v105
	v_fmac_f16_e32 v99, 0x34f2, v5
	v_sub_f16_e32 v93, v103, v140
	v_add_f16_e32 v94, v94, v112
	v_fma_f16 v96, -0.5, v139, v69
	v_fmac_f16_e32 v90, 0x34f2, v5
	v_add_f16_e32 v112, v4, v102
	v_sub_f16_e32 v4, v98, v97
	v_sub_f16_e32 v5, v101, v102
	v_add_f16_e32 v69, v91, v100
	v_fmamk_f16 v18, v66, 0xbb9c, v19
	v_fmac_f16_e32 v19, 0x3b9c, v66
	v_fmamk_f16 v139, v93, 0x3b9c, v96
	v_add_f16_e32 v149, v103, v140
	v_add_f16_e32 v4, v4, v5
	v_fmac_f16_e32 v96, 0xbb9c, v93
	v_add_f16_e32 v5, v69, v103
	v_fmac_f16_e32 v18, 0xb8b4, v93
	v_fmac_f16_e32 v19, 0x38b4, v93
	;; [unrolled: 1-line block ×3, first 2 shown]
	v_fma_f16 v149, -0.5, v149, v91
	v_sub_f16_e32 v69, v97, v102
	v_fmac_f16_e32 v96, 0x38b4, v66
	v_add_f16_e32 v5, v5, v140
	v_add_f16_e32 v66, v100, v105
	v_fmac_f16_e32 v18, 0x34f2, v94
	v_fmac_f16_e32 v19, 0x34f2, v94
	v_fmamk_f16 v97, v69, 0x3b9c, v149
	v_sub_f16_e32 v93, v98, v101
	v_sub_f16_e32 v94, v100, v103
	;; [unrolled: 1-line block ×3, first 2 shown]
	v_fmac_f16_e32 v91, -0.5, v66
	v_add_f16_e32 v101, v5, v105
	v_fmac_f16_e32 v149, 0xbb9c, v69
	v_sub_f16_e32 v5, v103, v100
	v_sub_f16_e32 v66, v140, v105
	v_fmac_f16_e32 v139, 0x34f2, v4
	v_fmac_f16_e32 v96, 0x34f2, v4
	;; [unrolled: 1-line block ×3, first 2 shown]
	v_add_f16_e32 v4, v94, v98
	v_fmac_f16_e32 v149, 0xb8b4, v93
	v_add_f16_e32 v5, v5, v66
	v_add_f16_e32 v66, v70, v111
	v_fmamk_f16 v98, v93, 0xbb9c, v91
	v_fmac_f16_e32 v97, 0x34f2, v4
	v_add_f16_e32 v94, v142, v143
	v_fmac_f16_e32 v149, 0x34f2, v4
	v_fmac_f16_e32 v91, 0x3b9c, v93
	v_add_f16_e32 v4, v66, v142
	v_lshrrev_b32_e32 v89, 16, v70
	v_fmac_f16_e32 v98, 0x38b4, v69
	v_fma_f16 v100, -0.5, v94, v70
	v_sub_f16_e32 v94, v107, v106
	v_sub_f16_e32 v93, v111, v142
	;; [unrolled: 1-line block ×3, first 2 shown]
	v_add_f16_e32 v105, v111, v144
	v_fmac_f16_e32 v91, 0xb8b4, v69
	v_add_f16_e32 v4, v4, v143
	v_fmac_f16_e32 v98, 0x34f2, v5
	v_fmamk_f16 v102, v94, 0xbb9c, v100
	v_sub_f16_e32 v66, v104, v109
	v_add_f16_e32 v69, v93, v103
	v_fmac_f16_e32 v70, -0.5, v105
	v_fmac_f16_e32 v91, 0x34f2, v5
	v_add_f16_e32 v103, v4, v144
	v_fmac_f16_e32 v100, 0x3b9c, v94
	v_sub_f16_e32 v4, v142, v111
	v_sub_f16_e32 v5, v143, v144
	v_add_f16_e32 v93, v89, v107
	v_fmac_f16_e32 v102, 0xb8b4, v66
	v_fmamk_f16 v105, v66, 0x3b9c, v70
	v_fmac_f16_e32 v100, 0x38b4, v66
	v_add_f16_e32 v140, v104, v109
	v_add_f16_e32 v4, v4, v5
	v_fmac_f16_e32 v70, 0xbb9c, v66
	v_add_f16_e32 v5, v93, v104
	v_fmac_f16_e32 v102, 0x34f2, v69
	v_fmac_f16_e32 v105, 0xb8b4, v94
	v_fma_f16 v140, -0.5, v140, v89
	v_sub_f16_e32 v93, v111, v144
	v_fmac_f16_e32 v100, 0x34f2, v69
	v_fmac_f16_e32 v70, 0x38b4, v94
	v_add_f16_e32 v5, v5, v109
	v_add_f16_e32 v66, v107, v106
	v_sub_f16_e32 v69, v142, v143
	v_sub_f16_e32 v94, v107, v104
	;; [unrolled: 1-line block ×3, first 2 shown]
	v_fmac_f16_e32 v105, 0x34f2, v4
	v_fmamk_f16 v111, v93, 0x3b9c, v140
	v_fmac_f16_e32 v70, 0x34f2, v4
	v_fmac_f16_e32 v89, -0.5, v66
	v_add_f16_e32 v143, v5, v106
	v_add_f16_e32 v4, v94, v142
	v_fmac_f16_e32 v140, 0xbb9c, v93
	v_sub_f16_e32 v5, v104, v107
	v_sub_f16_e32 v66, v109, v106
	v_add_f16_e32 v94, v12, v16
	v_fmac_f16_e32 v111, 0x38b4, v69
	v_fmamk_f16 v142, v69, 0xbb9c, v89
	v_fmac_f16_e32 v140, 0xb8b4, v69
	v_add_f16_e32 v5, v5, v66
	v_fmac_f16_e32 v89, 0x3b9c, v69
	v_fma_f16 v66, -0.5, v94, v65
	v_sub_f16_e32 v94, v9, v17
	v_fmac_f16_e32 v111, 0x34f2, v4
	v_fmac_f16_e32 v142, 0x38b4, v93
	v_add_f16_e32 v69, v65, v13
	v_fmac_f16_e32 v140, 0x34f2, v4
	v_fmac_f16_e32 v89, 0xb8b4, v93
	v_fmamk_f16 v4, v94, 0xbb9c, v66
	v_sub_f16_e32 v93, v10, v14
	v_sub_f16_e32 v104, v13, v12
	;; [unrolled: 1-line block ×3, first 2 shown]
	v_fmac_f16_e32 v66, 0x3b9c, v94
	v_add_f16_e32 v69, v69, v12
	v_add_f16_e32 v107, v13, v95
	v_fmac_f16_e32 v4, 0xb8b4, v93
	v_add_f16_e32 v104, v104, v106
	v_fmac_f16_e32 v66, 0x38b4, v93
	v_lshrrev_b32_e32 v73, 16, v65
	v_add_f16_e32 v69, v69, v16
	v_fmac_f16_e32 v65, -0.5, v107
	v_fmac_f16_e32 v4, 0x34f2, v104
	v_fmac_f16_e32 v66, 0x34f2, v104
	v_sub_f16_e32 v104, v12, v13
	v_sub_f16_e32 v107, v16, v95
	v_fmac_f16_e32 v142, 0x34f2, v5
	v_fmac_f16_e32 v89, 0x34f2, v5
	v_add_f16_e32 v106, v69, v95
	v_fmamk_f16 v5, v93, 0x3b9c, v65
	v_add_f16_e32 v69, v10, v14
	v_fmac_f16_e32 v65, 0xbb9c, v93
	v_add_f16_e32 v109, v73, v9
	v_sub_f16_e32 v13, v13, v95
	v_add_f16_e32 v95, v104, v107
	v_add_f16_e32 v104, v9, v17
	v_fma_f16 v93, -0.5, v69, v73
	v_fmac_f16_e32 v5, 0xb8b4, v94
	v_fmac_f16_e32 v65, 0x38b4, v94
	v_add_f16_e32 v94, v109, v10
	v_sub_f16_e32 v12, v12, v16
	v_fmac_f16_e32 v73, -0.5, v104
	v_fmac_f16_e32 v5, 0x34f2, v95
	v_fmac_f16_e32 v65, 0x34f2, v95
	v_add_f16_e32 v16, v94, v14
	v_sub_f16_e32 v95, v9, v10
	v_fmamk_f16 v94, v12, 0xbb9c, v73
	v_sub_f16_e32 v9, v10, v9
	v_sub_f16_e32 v10, v14, v17
	v_fmac_f16_e32 v73, 0x3b9c, v12
	v_fmamk_f16 v69, v13, 0x3b9c, v93
	v_sub_f16_e32 v104, v17, v14
	v_fmac_f16_e32 v93, 0xbb9c, v13
	v_fmac_f16_e32 v94, 0x38b4, v13
	v_add_f16_e32 v9, v9, v10
	v_fmac_f16_e32 v73, 0xb8b4, v13
	v_fmac_f16_e32 v69, 0x38b4, v12
	v_add_f16_e32 v14, v95, v104
	v_fmac_f16_e32 v93, 0xb8b4, v12
	v_pack_b32_f16 v7, v7, v110
	v_pack_b32_f16 v6, v6, v67
	v_fmac_f16_e32 v94, 0x34f2, v9
	v_fmac_f16_e32 v73, 0x34f2, v9
	v_pack_b32_f16 v9, v15, v145
	v_pack_b32_f16 v11, v11, v92
	;; [unrolled: 1-line block ×5, first 2 shown]
	v_fmac_f16_e32 v69, 0x34f2, v14
	v_fmac_f16_e32 v93, 0x34f2, v14
	v_pack_b32_f16 v14, v146, v99
	v_pack_b32_f16 v15, v68, v90
	buffer_gl0_inv
	ds_write2_b32 v158, v7, v6 offset1:9
	ds_write2_b32 v158, v9, v11 offset0:18 offset1:27
	ds_write_b32 v158, v8 offset:144
	ds_write2_b32 v159, v12, v13 offset1:9
	ds_write2_b32 v159, v14, v15 offset0:18 offset1:27
	v_pack_b32_f16 v6, v21, v23
	v_pack_b32_f16 v7, v112, v101
	;; [unrolled: 1-line block ×3, first 2 shown]
	v_add_f16_e32 v10, v16, v17
	v_pack_b32_f16 v9, v139, v98
	v_pack_b32_f16 v11, v96, v91
	;; [unrolled: 1-line block ×5, first 2 shown]
	ds_write_b32 v159, v6 offset:144
	ds_write2_b32 v161, v7, v8 offset1:9
	ds_write2_b32 v161, v9, v11 offset0:18 offset1:27
	ds_write_b32 v161, v12 offset:144
	ds_write2_b32 v160, v13, v14 offset1:9
	v_pack_b32_f16 v6, v105, v142
	v_pack_b32_f16 v7, v70, v89
	;; [unrolled: 1-line block ×8, first 2 shown]
	ds_write2_b32 v160, v6, v7 offset0:18 offset1:27
	ds_write_b32 v160, v8 offset:144
	ds_write2_b32 v162, v9, v10 offset1:9
	ds_write2_b32 v162, v11, v12 offset0:18 offset1:27
	ds_write_b32 v162, v13 offset:144
	s_waitcnt lgkmcnt(0)
	s_barrier
	buffer_gl0_inv
	ds_read2_b32 v[8:9], v113 offset1:63
	ds_read2_b32 v[6:7], v113 offset0:126 offset1:225
	ds_read2_b32 v[67:68], v82 offset0:66 offset1:129
	;; [unrolled: 1-line block ×9, first 2 shown]
	ds_read_b32 v70, v113 offset:5904
	s_and_saveexec_b32 s1, s0
	s_cbranch_execz .LBB0_27
; %bb.26:
	v_add_nc_u32_e32 v4, 0x280, v113
	v_add_nc_u32_e32 v63, 0x9c0, v113
	v_add_nc_u32_e32 v64, 0x1100, v113
	ds_read2_b32 v[4:5], v4 offset0:29 offset1:254
	ds_read2_b32 v[65:66], v63 offset0:15 offset1:240
	;; [unrolled: 1-line block ×3, first 2 shown]
	ds_read_b32 v163, v113 offset:6156
	s_waitcnt lgkmcnt(3)
	v_lshrrev_b32_e32 v69, 16, v4
	v_lshrrev_b32_e32 v94, 16, v5
	s_waitcnt lgkmcnt(2)
	v_lshrrev_b32_e32 v73, 16, v65
	v_lshrrev_b32_e32 v93, 16, v66
	;; [unrolled: 3-line block ×3, first 2 shown]
	s_waitcnt lgkmcnt(0)
	v_lshrrev_b32_e32 v164, 16, v163
.LBB0_27:
	s_or_b32 exec_lo, exec_lo, s1
	s_waitcnt lgkmcnt(9)
	v_lshrrev_b32_e32 v74, 16, v7
	s_waitcnt lgkmcnt(8)
	v_lshrrev_b32_e32 v75, 16, v67
	;; [unrolled: 2-line block ×5, first 2 shown]
	v_mul_f16_sdwa v98, v24, v74 dst_sel:DWORD dst_unused:UNUSED_PAD src0_sel:WORD_1 src1_sel:DWORD
	v_mul_f16_sdwa v103, v25, v75 dst_sel:DWORD dst_unused:UNUSED_PAD src0_sel:WORD_1 src1_sel:DWORD
	;; [unrolled: 1-line block ×5, first 2 shown]
	v_fmac_f16_e32 v98, v24, v7
	v_mul_f16_sdwa v7, v24, v7 dst_sel:DWORD dst_unused:UNUSED_PAD src0_sel:WORD_1 src1_sel:DWORD
	s_waitcnt lgkmcnt(3)
	v_lshrrev_b32_e32 v82, 16, v20
	v_lshrrev_b32_e32 v89, 16, v68
	v_fmac_f16_e32 v103, v25, v67
	v_fmac_f16_e32 v105, v26, v11
	v_fma_f16 v7, v24, v74, -v7
	v_fma_f16 v24, v25, v75, -v104
	;; [unrolled: 1-line block ×3, first 2 shown]
	v_mul_f16_sdwa v25, v27, v79 dst_sel:DWORD dst_unused:UNUSED_PAD src0_sel:WORD_1 src1_sel:DWORD
	v_mul_f16_sdwa v26, v27, v22 dst_sel:DWORD dst_unused:UNUSED_PAD src0_sel:WORD_1 src1_sel:DWORD
	;; [unrolled: 1-line block ×4, first 2 shown]
	v_lshrrev_b32_e32 v81, 16, v18
	s_waitcnt lgkmcnt(2)
	v_lshrrev_b32_e32 v90, 16, v16
	v_lshrrev_b32_e32 v91, 16, v23
	v_fmac_f16_e32 v25, v27, v22
	v_fma_f16 v22, v27, v79, -v26
	v_fmac_f16_e32 v67, v83, v13
	v_fma_f16 v13, v83, v80, -v74
	v_mul_f16_sdwa v26, v32, v82 dst_sel:DWORD dst_unused:UNUSED_PAD src0_sel:WORD_1 src1_sel:DWORD
	v_mul_f16_sdwa v27, v32, v20 dst_sel:DWORD dst_unused:UNUSED_PAD src0_sel:WORD_1 src1_sel:DWORD
	;; [unrolled: 1-line block ×4, first 2 shown]
	v_lshrrev_b32_e32 v95, 16, v19
	v_lshrrev_b32_e32 v96, 16, v21
	v_mul_f16_sdwa v75, v84, v81 dst_sel:DWORD dst_unused:UNUSED_PAD src0_sel:WORD_1 src1_sel:DWORD
	v_fmac_f16_e32 v26, v32, v20
	v_fma_f16 v20, v32, v82, -v27
	v_fmac_f16_e32 v74, v33, v68
	v_fma_f16 v27, v33, v89, -v76
	v_mul_f16_sdwa v32, v34, v90 dst_sel:DWORD dst_unused:UNUSED_PAD src0_sel:WORD_1 src1_sel:DWORD
	v_mul_f16_sdwa v33, v34, v16 dst_sel:DWORD dst_unused:UNUSED_PAD src0_sel:WORD_1 src1_sel:DWORD
	;; [unrolled: 1-line block ×4, first 2 shown]
	v_lshrrev_b32_e32 v97, 16, v10
	v_lshrrev_b32_e32 v99, 16, v17
	;; [unrolled: 1-line block ×3, first 2 shown]
	v_fmac_f16_e32 v75, v84, v18
	v_mul_f16_sdwa v18, v84, v18 dst_sel:DWORD dst_unused:UNUSED_PAD src0_sel:WORD_1 src1_sel:DWORD
	v_fmac_f16_e32 v32, v34, v16
	v_fma_f16 v16, v34, v90, -v33
	v_fmac_f16_e32 v68, v35, v23
	v_fma_f16 v23, v35, v91, -v76
	v_mul_f16_sdwa v33, v88, v95 dst_sel:DWORD dst_unused:UNUSED_PAD src0_sel:WORD_1 src1_sel:DWORD
	v_mul_f16_sdwa v34, v88, v19 dst_sel:DWORD dst_unused:UNUSED_PAD src0_sel:WORD_1 src1_sel:DWORD
	;; [unrolled: 1-line block ×4, first 2 shown]
	s_waitcnt lgkmcnt(1)
	v_lshrrev_b32_e32 v101, 16, v15
	s_waitcnt lgkmcnt(0)
	v_lshrrev_b32_e32 v102, 16, v70
	v_fma_f16 v18, v84, v81, -v18
	v_fmac_f16_e32 v33, v88, v19
	v_fma_f16 v19, v88, v95, -v34
	v_fmac_f16_e32 v35, v28, v21
	v_fma_f16 v21, v28, v96, -v76
	v_mul_f16_sdwa v28, v29, v97 dst_sel:DWORD dst_unused:UNUSED_PAD src0_sel:WORD_1 src1_sel:DWORD
	v_mul_f16_sdwa v34, v29, v10 dst_sel:DWORD dst_unused:UNUSED_PAD src0_sel:WORD_1 src1_sel:DWORD
	;; [unrolled: 1-line block ×5, first 2 shown]
	v_lshrrev_b32_e32 v92, 16, v14
	v_fmac_f16_e32 v28, v29, v10
	v_fma_f16 v10, v29, v97, -v34
	v_fmac_f16_e32 v76, v30, v17
	v_fma_f16 v17, v30, v99, -v80
	v_fmac_f16_e32 v81, v31, v12
	v_mul_f16_sdwa v12, v31, v12 dst_sel:DWORD dst_unused:UNUSED_PAD src0_sel:WORD_1 src1_sel:DWORD
	v_mul_f16_sdwa v29, v85, v101 dst_sel:DWORD dst_unused:UNUSED_PAD src0_sel:WORD_1 src1_sel:DWORD
	;; [unrolled: 1-line block ×6, first 2 shown]
	v_fma_f16 v12, v31, v100, -v12
	v_fmac_f16_e32 v29, v85, v15
	v_fma_f16 v15, v85, v101, -v30
	v_fmac_f16_e32 v34, v86, v70
	v_fma_f16 v30, v86, v102, -v80
	v_add_f16_e32 v31, v98, v75
	v_add_f16_e32 v70, v7, v18
	v_sub_f16_e32 v7, v7, v18
	v_add_f16_e32 v18, v103, v67
	v_add_f16_e32 v80, v24, v13
	v_fmac_f16_e32 v79, v87, v14
	v_mul_f16_sdwa v14, v87, v14 dst_sel:DWORD dst_unused:UNUSED_PAD src0_sel:WORD_1 src1_sel:DWORD
	v_sub_f16_e32 v75, v98, v75
	v_sub_f16_e32 v67, v103, v67
	;; [unrolled: 1-line block ×3, first 2 shown]
	v_add_f16_e32 v24, v105, v25
	v_add_f16_e32 v82, v11, v22
	v_sub_f16_e32 v25, v25, v105
	v_sub_f16_e32 v11, v22, v11
	v_add_f16_e32 v22, v18, v31
	v_add_f16_e32 v83, v80, v70
	v_fma_f16 v14, v87, v92, -v14
	v_sub_f16_e32 v84, v18, v31
	v_sub_f16_e32 v85, v80, v70
	;; [unrolled: 1-line block ×6, first 2 shown]
	v_add_f16_e32 v86, v25, v67
	v_add_f16_e32 v87, v11, v13
	v_sub_f16_e32 v88, v25, v67
	v_sub_f16_e32 v89, v11, v13
	;; [unrolled: 1-line block ×3, first 2 shown]
	v_add_f16_e32 v22, v24, v22
	v_add_f16_e32 v24, v82, v83
	v_sub_f16_e32 v13, v13, v7
	v_sub_f16_e32 v25, v75, v25
	v_sub_f16_e32 v11, v7, v11
	v_add_f16_e32 v75, v86, v75
	v_add_f16_e32 v7, v87, v7
	;; [unrolled: 1-line block ×3, first 2 shown]
	v_add_f16_sdwa v8, v8, v24 dst_sel:DWORD dst_unused:UNUSED_PAD src0_sel:WORD_1 src1_sel:DWORD
	v_mul_f16_e32 v31, 0x3a52, v31
	v_mul_f16_e32 v70, 0x3a52, v70
	;; [unrolled: 1-line block ×8, first 2 shown]
	v_fmamk_f16 v22, v22, 0xbcab, v82
	v_fmamk_f16 v24, v24, 0xbcab, v8
	;; [unrolled: 1-line block ×4, first 2 shown]
	v_fma_f16 v83, v84, 0x39e0, -v83
	v_fma_f16 v86, v85, 0x39e0, -v86
	v_fma_f16 v31, v84, 0xb9e0, -v31
	v_fma_f16 v70, v85, 0xb9e0, -v70
	v_fmamk_f16 v84, v25, 0xb574, v87
	v_fmamk_f16 v85, v11, 0xb574, v88
	v_fma_f16 v25, v25, 0x3574, -v89
	v_fma_f16 v11, v11, 0x3574, -v90
	;; [unrolled: 1-line block ×3, first 2 shown]
	v_add_f16_e32 v18, v18, v22
	v_add_f16_e32 v80, v80, v24
	;; [unrolled: 1-line block ×6, first 2 shown]
	v_fmac_f16_e32 v84, 0xb70e, v75
	v_fmac_f16_e32 v11, 0xb70e, v7
	;; [unrolled: 1-line block ×3, first 2 shown]
	v_fma_f16 v13, v13, 0xbb00, -v88
	v_fmac_f16_e32 v67, 0xb70e, v75
	v_sub_f16_e32 v31, v80, v84
	v_add_f16_e32 v70, v11, v22
	v_sub_f16_e32 v75, v24, v25
	v_sub_f16_e32 v11, v22, v11
	v_add_f16_e32 v22, v25, v24
	v_add_f16_e32 v24, v84, v80
	v_add_f16_e32 v25, v26, v33
	v_add_f16_e32 v80, v20, v19
	v_sub_f16_e32 v26, v26, v33
	v_sub_f16_e32 v19, v20, v19
	v_add_f16_e32 v20, v74, v79
	v_add_f16_e32 v33, v27, v14
	v_fmac_f16_e32 v85, 0xb70e, v7
	v_fmac_f16_e32 v13, 0xb70e, v7
	v_sub_f16_e32 v74, v74, v79
	v_sub_f16_e32 v14, v27, v14
	v_add_f16_e32 v27, v32, v68
	v_add_f16_e32 v79, v16, v23
	v_sub_f16_e32 v32, v68, v32
	v_sub_f16_e32 v16, v23, v16
	v_add_f16_e32 v23, v20, v25
	v_add_f16_e32 v68, v33, v80
	;; [unrolled: 1-line block ×3, first 2 shown]
	v_sub_f16_e32 v87, v83, v13
	v_add_f16_e32 v88, v67, v86
	v_add_f16_e32 v13, v13, v83
	v_sub_f16_e32 v67, v86, v67
	v_sub_f16_e32 v18, v18, v85
	;; [unrolled: 1-line block ×8, first 2 shown]
	v_add_f16_e32 v85, v32, v74
	v_add_f16_e32 v86, v16, v14
	v_sub_f16_e32 v89, v32, v74
	v_sub_f16_e32 v90, v16, v14
	;; [unrolled: 1-line block ×3, first 2 shown]
	v_add_f16_e32 v23, v27, v23
	v_add_f16_e32 v27, v79, v68
	v_sub_f16_e32 v14, v14, v19
	v_sub_f16_e32 v32, v26, v32
	;; [unrolled: 1-line block ×3, first 2 shown]
	v_add_f16_e32 v26, v85, v26
	v_add_f16_e32 v19, v86, v19
	v_add_f16_e32 v68, v9, v23
	v_add_f16_sdwa v9, v9, v27 dst_sel:DWORD dst_unused:UNUSED_PAD src0_sel:WORD_1 src1_sel:DWORD
	v_mul_f16_e32 v25, 0x3a52, v25
	v_mul_f16_e32 v79, 0x3a52, v80
	v_mul_f16_e32 v80, 0x2b26, v20
	v_mul_f16_e32 v85, 0x2b26, v33
	v_mul_f16_e32 v86, 0x3846, v89
	v_mul_f16_e32 v89, 0x3846, v90
	v_mul_f16_e32 v90, 0xbb00, v74
	v_mul_f16_e32 v91, 0xbb00, v14
	v_fmamk_f16 v23, v23, 0xbcab, v68
	v_fmamk_f16 v27, v27, 0xbcab, v9
	;; [unrolled: 1-line block ×4, first 2 shown]
	v_fma_f16 v80, v83, 0x39e0, -v80
	v_fma_f16 v85, v84, 0x39e0, -v85
	;; [unrolled: 1-line block ×4, first 2 shown]
	v_fmamk_f16 v83, v32, 0xb574, v86
	v_fmamk_f16 v84, v16, 0xb574, v89
	v_fma_f16 v32, v32, 0x3574, -v90
	v_fma_f16 v16, v16, 0x3574, -v91
	;; [unrolled: 1-line block ×4, first 2 shown]
	v_add_f16_e32 v20, v20, v23
	v_add_f16_e32 v33, v33, v27
	v_add_f16_e32 v80, v80, v23
	v_add_f16_e32 v23, v25, v23
	v_add_f16_e32 v25, v79, v27
	v_fmac_f16_e32 v83, 0xb70e, v26
	v_fmac_f16_e32 v16, 0xb70e, v19
	;; [unrolled: 1-line block ×3, first 2 shown]
	v_add_f16_e32 v85, v85, v27
	v_fmac_f16_e32 v74, 0xb70e, v26
	v_fmac_f16_e32 v14, 0xb70e, v19
	v_sub_f16_e32 v26, v33, v83
	v_add_f16_e32 v27, v16, v23
	v_sub_f16_e32 v79, v25, v32
	v_sub_f16_e32 v16, v23, v16
	v_add_f16_e32 v23, v32, v25
	v_add_f16_e32 v25, v83, v33
	;; [unrolled: 1-line block ×4, first 2 shown]
	v_sub_f16_e32 v34, v35, v34
	v_sub_f16_e32 v21, v21, v30
	v_add_f16_e32 v30, v28, v29
	v_add_f16_e32 v35, v10, v15
	v_fmac_f16_e32 v84, 0xb70e, v19
	v_sub_f16_e32 v86, v80, v14
	v_add_f16_e32 v14, v14, v80
	v_sub_f16_e32 v28, v28, v29
	v_sub_f16_e32 v10, v10, v15
	v_add_f16_e32 v15, v76, v81
	v_add_f16_e32 v29, v17, v12
	v_sub_f16_e32 v76, v81, v76
	v_sub_f16_e32 v12, v12, v17
	v_add_f16_e32 v17, v30, v32
	v_add_f16_e32 v80, v35, v33
	;; [unrolled: 1-line block ×4, first 2 shown]
	v_sub_f16_e32 v74, v85, v74
	v_sub_f16_e32 v20, v20, v84
	;; [unrolled: 1-line block ×8, first 2 shown]
	v_add_f16_e32 v84, v76, v28
	v_add_f16_e32 v85, v12, v10
	v_sub_f16_e32 v90, v76, v28
	v_sub_f16_e32 v91, v12, v10
	;; [unrolled: 1-line block ×3, first 2 shown]
	v_add_f16_e32 v15, v15, v17
	v_add_f16_e32 v17, v29, v80
	v_sub_f16_e32 v10, v10, v21
	v_sub_f16_e32 v76, v34, v76
	;; [unrolled: 1-line block ×3, first 2 shown]
	v_add_f16_e32 v29, v84, v34
	v_add_f16_e32 v21, v85, v21
	;; [unrolled: 1-line block ×3, first 2 shown]
	v_add_f16_sdwa v6, v6, v17 dst_sel:DWORD dst_unused:UNUSED_PAD src0_sel:WORD_1 src1_sel:DWORD
	v_mul_f16_e32 v32, 0x3a52, v32
	v_mul_f16_e32 v33, 0x3a52, v33
	;; [unrolled: 1-line block ×8, first 2 shown]
	v_fmamk_f16 v15, v15, 0xbcab, v34
	v_fmamk_f16 v17, v17, 0xbcab, v6
	;; [unrolled: 1-line block ×4, first 2 shown]
	v_fma_f16 v80, v81, 0x39e0, -v80
	v_fma_f16 v84, v83, 0x39e0, -v84
	;; [unrolled: 1-line block ×4, first 2 shown]
	v_fmamk_f16 v81, v76, 0xb574, v85
	v_fmamk_f16 v83, v12, 0xb574, v90
	v_fma_f16 v76, v76, 0x3574, -v91
	v_fma_f16 v12, v12, 0x3574, -v92
	;; [unrolled: 1-line block ×4, first 2 shown]
	v_add_f16_e32 v30, v30, v15
	v_add_f16_e32 v35, v35, v17
	v_add_f16_e32 v80, v80, v15
	v_add_f16_e32 v84, v84, v17
	v_add_f16_e32 v15, v32, v15
	v_add_f16_e32 v17, v33, v17
	v_fmac_f16_e32 v81, 0xb70e, v29
	v_fmac_f16_e32 v83, 0xb70e, v21
	;; [unrolled: 1-line block ×4, first 2 shown]
	v_pack_b32_f16 v8, v82, v8
	v_pack_b32_f16 v7, v7, v31
	v_fmac_f16_e32 v28, 0xb70e, v29
	v_fmac_f16_e32 v10, 0xb70e, v21
	v_add_f16_e32 v21, v83, v30
	v_sub_f16_e32 v29, v35, v81
	v_add_f16_e32 v32, v12, v15
	v_sub_f16_e32 v33, v17, v76
	v_sub_f16_e32 v12, v15, v12
	v_add_f16_e32 v15, v76, v17
	v_sub_f16_e32 v17, v30, v83
	v_add_f16_e32 v30, v81, v35
	v_pack_b32_f16 v31, v70, v75
	v_pack_b32_f16 v35, v87, v88
	s_barrier
	buffer_gl0_inv
	ds_write2_b32 v165, v8, v7 offset1:45
	ds_write2_b32 v165, v31, v35 offset0:90 offset1:135
	v_pack_b32_f16 v7, v13, v67
	v_pack_b32_f16 v8, v11, v22
	;; [unrolled: 1-line block ×3, first 2 shown]
	v_sub_f16_e32 v85, v80, v10
	v_add_f16_e32 v90, v28, v84
	v_pack_b32_f16 v9, v68, v9
	v_pack_b32_f16 v13, v19, v26
	v_add_f16_e32 v10, v10, v80
	v_sub_f16_e32 v28, v84, v28
	v_pack_b32_f16 v18, v27, v79
	v_pack_b32_f16 v19, v86, v89
	;; [unrolled: 1-line block ×4, first 2 shown]
	ds_write2_b32 v165, v7, v8 offset0:180 offset1:225
	ds_write_b32 v165, v11 offset:1080
	ds_write2_b32 v166, v9, v13 offset1:45
	ds_write2_b32 v166, v18, v19 offset0:90 offset1:135
	ds_write2_b32 v166, v14, v16 offset0:180 offset1:225
	v_pack_b32_f16 v7, v20, v25
	v_pack_b32_f16 v6, v34, v6
	;; [unrolled: 1-line block ×8, first 2 shown]
	ds_write_b32 v166, v7 offset:1080
	ds_write2_b32 v167, v6, v8 offset1:45
	ds_write2_b32 v167, v9, v11 offset0:90 offset1:135
	ds_write2_b32 v167, v10, v12 offset0:180 offset1:225
	ds_write_b32 v167, v13 offset:1080
	s_and_saveexec_b32 s1, s0
	s_cbranch_execz .LBB0_29
; %bb.28:
	v_mul_f16_sdwa v6, v0, v94 dst_sel:DWORD dst_unused:UNUSED_PAD src0_sel:WORD_1 src1_sel:DWORD
	v_mul_f16_sdwa v9, v1, v73 dst_sel:DWORD dst_unused:UNUSED_PAD src0_sel:WORD_1 src1_sel:DWORD
	;; [unrolled: 1-line block ×5, first 2 shown]
	v_fmac_f16_e32 v6, v0, v5
	v_mul_f16_sdwa v5, v0, v5 dst_sel:DWORD dst_unused:UNUSED_PAD src0_sel:WORD_1 src1_sel:DWORD
	v_mul_f16_sdwa v7, v3, v72 dst_sel:DWORD dst_unused:UNUSED_PAD src0_sel:WORD_1 src1_sel:DWORD
	;; [unrolled: 1-line block ×5, first 2 shown]
	v_fmac_f16_e32 v9, v1, v65
	v_fma_f16 v14, v78, v164, -v14
	v_fma_f16 v0, v0, v94, -v5
	v_mul_f16_sdwa v5, v2, v66 dst_sel:DWORD dst_unused:UNUSED_PAD src0_sel:WORD_1 src1_sel:DWORD
	v_mul_f16_sdwa v20, v3, v63 dst_sel:DWORD dst_unused:UNUSED_PAD src0_sel:WORD_1 src1_sel:DWORD
	v_fma_f16 v18, v77, v71, -v18
	v_fma_f16 v1, v1, v73, -v19
	v_fmac_f16_e32 v7, v3, v63
	v_fmac_f16_e32 v8, v2, v66
	;; [unrolled: 1-line block ×4, first 2 shown]
	v_add_f16_e32 v19, v14, v0
	v_fma_f16 v2, v2, v93, -v5
	v_fma_f16 v3, v3, v72, -v20
	v_add_f16_e32 v5, v18, v1
	v_sub_f16_e32 v13, v9, v10
	v_sub_f16_e32 v15, v6, v11
	v_add_f16_e32 v6, v11, v6
	v_add_f16_e32 v21, v2, v3
	;; [unrolled: 1-line block ×4, first 2 shown]
	v_sub_f16_e32 v12, v7, v8
	v_add_f16_e32 v7, v8, v7
	v_sub_f16_e32 v23, v19, v21
	v_add_f16_e32 v22, v21, v22
	;; [unrolled: 2-line block ×3, first 2 shown]
	v_sub_f16_e32 v24, v6, v7
	v_sub_f16_e32 v2, v3, v2
	;; [unrolled: 1-line block ×4, first 2 shown]
	v_add_f16_e32 v21, v7, v21
	v_sub_f16_e32 v16, v12, v13
	v_sub_f16_e32 v17, v15, v12
	v_add_f16_e32 v12, v12, v13
	v_mul_f16_e32 v3, 0x3a52, v24
	v_sub_f16_e32 v7, v7, v9
	v_add_f16_e32 v4, v4, v21
	v_sub_f16_e32 v14, v2, v1
	v_sub_f16_e32 v13, v13, v15
	v_mul_f16_e32 v11, 0x3a52, v23
	v_sub_f16_e32 v24, v0, v2
	v_add_f16_e32 v2, v2, v1
	v_sub_f16_e32 v5, v5, v19
	v_sub_f16_e32 v1, v1, v0
	v_mul_f16_e32 v16, 0x3846, v16
	v_add_f16_e32 v8, v69, v22
	v_mul_f16_e32 v23, 0x2b26, v10
	v_fmamk_f16 v18, v7, 0x2b26, v3
	v_fmamk_f16 v21, v21, 0xbcab, v4
	v_mul_f16_e32 v14, 0x3846, v14
	v_mul_f16_e32 v26, 0xbb00, v13
	v_fmamk_f16 v10, v10, 0x2b26, v11
	v_mul_f16_e32 v7, 0x2b26, v7
	v_sub_f16_e32 v6, v9, v6
	v_fma_f16 v9, v5, 0xb9e0, -v11
	v_mul_f16_e32 v11, 0xbb00, v1
	v_fmamk_f16 v20, v17, 0xb574, v16
	v_add_f16_e32 v12, v12, v15
	v_fmamk_f16 v22, v22, 0xbcab, v8
	v_add_f16_e32 v15, v18, v21
	;; [unrolled: 2-line block ×3, first 2 shown]
	v_fma_f16 v2, v17, 0x3574, -v26
	v_fma_f16 v5, v5, 0x39e0, -v23
	;; [unrolled: 1-line block ×7, first 2 shown]
	v_fmac_f16_e32 v20, 0xb70e, v12
	v_add_f16_e32 v10, v10, v22
	v_fmac_f16_e32 v18, 0xb70e, v0
	v_fmac_f16_e32 v2, 0xb70e, v12
	v_add_f16_e32 v9, v9, v22
	v_add_f16_e32 v5, v5, v22
	v_fmac_f16_e32 v13, 0xb70e, v12
	v_mov_b32_e32 v17, 2
	v_add_f16_e32 v3, v3, v21
	v_fmac_f16_e32 v11, 0xb70e, v0
	v_fmac_f16_e32 v1, 0xb70e, v0
	v_add_f16_e32 v0, v6, v21
	v_add_f16_e32 v25, v20, v10
	;; [unrolled: 1-line block ×3, first 2 shown]
	v_sub_f16_e32 v14, v5, v13
	v_add_f16_e32 v5, v13, v5
	v_sub_f16_e32 v2, v9, v2
	v_sub_f16_e32 v9, v10, v20
	v_add_f16_e32 v10, v18, v15
	v_lshlrev_b32_sdwa v13, v17, v148 dst_sel:DWORD dst_unused:UNUSED_PAD src0_sel:DWORD src1_sel:BYTE_0
	v_sub_f16_e32 v12, v3, v11
	v_add_f16_e32 v16, v1, v0
	v_add_f16_e32 v3, v11, v3
	v_sub_f16_e32 v0, v0, v1
	v_sub_f16_e32 v6, v15, v18
	v_pack_b32_f16 v1, v4, v8
	v_pack_b32_f16 v4, v10, v9
	v_add_nc_u32_e32 v8, 0x1200, v13
	v_pack_b32_f16 v2, v3, v2
	v_pack_b32_f16 v0, v0, v5
	v_add_nc_u32_e32 v3, 0x1400, v13
	v_pack_b32_f16 v5, v16, v14
	v_pack_b32_f16 v7, v12, v7
	;; [unrolled: 1-line block ×3, first 2 shown]
	ds_write2_b32 v8, v1, v4 offset0:108 offset1:153
	ds_write2_b32 v3, v2, v0 offset0:70 offset1:115
	;; [unrolled: 1-line block ×3, first 2 shown]
	ds_write_b32 v13, v6 offset:6120
.LBB0_29:
	s_or_b32 exec_lo, exec_lo, s1
	v_add_nc_u32_e32 v9, 0x200, v113
	v_add_nc_u32_e32 v11, 0x800, v113
	;; [unrolled: 1-line block ×3, first 2 shown]
	s_waitcnt lgkmcnt(0)
	s_barrier
	buffer_gl0_inv
	ds_read2_b32 v[2:3], v113 offset1:63
	ds_read2_b32 v[0:1], v9 offset0:124 offset1:187
	ds_read2_b32 v[19:20], v11 offset0:118 offset1:181
	;; [unrolled: 1-line block ×3, first 2 shown]
	v_add_nc_u32_e32 v4, 0x1200, v113
	v_add_nc_u32_e32 v8, 0x400, v113
	;; [unrolled: 1-line block ×5, first 2 shown]
	ds_read2_b32 v[24:25], v4 offset0:108 offset1:171
	ds_read2_b32 v[26:27], v8 offset0:122 offset1:185
	;; [unrolled: 1-line block ×4, first 2 shown]
	v_add_nc_u32_e32 v12, 0x600, v113
	v_add_nc_u32_e32 v10, 0x1000, v113
	ds_read2_b32 v[4:5], v113 offset0:126 offset1:189
	ds_read2_b32 v[32:33], v6 offset0:106 offset1:169
	ds_read2_b32 v[34:35], v12 offset0:120 offset1:183
	ds_read2_b32 v[63:64], v10 offset0:110 offset1:173
	ds_read_b32 v68, v113 offset:6048
	s_mov_b32 s4, 0xae67b348
	s_mov_b32 s5, 0x3f44ce19
	s_waitcnt lgkmcnt(11)
	v_lshrrev_b32_e32 v21, 16, v1
	s_waitcnt lgkmcnt(10)
	v_lshrrev_b32_e32 v65, 16, v19
	;; [unrolled: 2-line block ×3, first 2 shown]
	v_mul_f16_sdwa v87, v41, v19 dst_sel:DWORD dst_unused:UNUSED_PAD src0_sel:WORD_1 src1_sel:DWORD
	v_mul_f16_sdwa v89, v42, v23 dst_sel:DWORD dst_unused:UNUSED_PAD src0_sel:WORD_1 src1_sel:DWORD
	;; [unrolled: 1-line block ×5, first 2 shown]
	s_waitcnt lgkmcnt(8)
	v_lshrrev_b32_e32 v67, 16, v24
	s_waitcnt lgkmcnt(7)
	v_lshrrev_b32_e32 v69, 16, v26
	v_fmac_f16_e32 v81, v40, v1
	v_mul_f16_sdwa v1, v40, v1 dst_sel:DWORD dst_unused:UNUSED_PAD src0_sel:WORD_1 src1_sel:DWORD
	v_lshrrev_b32_e32 v70, 16, v20
	s_waitcnt lgkmcnt(6)
	v_lshrrev_b32_e32 v71, 16, v28
	v_fmac_f16_e32 v86, v41, v19
	v_fma_f16 v41, v41, v65, -v87
	v_fma_f16 v40, v40, v21, -v1
	v_fmac_f16_e32 v88, v42, v23
	v_fma_f16 v42, v42, v66, -v89
	v_mul_f16_sdwa v65, v43, v67 dst_sel:DWORD dst_unused:UNUSED_PAD src0_sel:WORD_1 src1_sel:DWORD
	v_mul_f16_sdwa v1, v43, v24 dst_sel:DWORD dst_unused:UNUSED_PAD src0_sel:WORD_1 src1_sel:DWORD
	;; [unrolled: 1-line block ×4, first 2 shown]
	v_lshrrev_b32_e32 v72, 16, v25
	v_lshrrev_b32_e32 v73, 16, v27
	s_waitcnt lgkmcnt(5)
	v_lshrrev_b32_e32 v74, 16, v30
	v_mul_f16_sdwa v87, v37, v70 dst_sel:DWORD dst_unused:UNUSED_PAD src0_sel:WORD_1 src1_sel:DWORD
	v_fmac_f16_e32 v65, v43, v24
	v_fma_f16 v43, v43, v67, -v1
	v_fmac_f16_e32 v66, v36, v26
	v_fma_f16 v36, v36, v69, -v19
	v_mul_f16_sdwa v1, v37, v20 dst_sel:DWORD dst_unused:UNUSED_PAD src0_sel:WORD_1 src1_sel:DWORD
	v_mul_f16_sdwa v67, v38, v71 dst_sel:DWORD dst_unused:UNUSED_PAD src0_sel:WORD_1 src1_sel:DWORD
	;; [unrolled: 1-line block ×3, first 2 shown]
	v_lshrrev_b32_e32 v75, 16, v29
	s_waitcnt lgkmcnt(2)
	v_lshrrev_b32_e32 v77, 16, v34
	v_fmac_f16_e32 v87, v37, v20
	v_mul_f16_sdwa v69, v39, v72 dst_sel:DWORD dst_unused:UNUSED_PAD src0_sel:WORD_1 src1_sel:DWORD
	v_mul_f16_sdwa v20, v39, v25 dst_sel:DWORD dst_unused:UNUSED_PAD src0_sel:WORD_1 src1_sel:DWORD
	v_fma_f16 v37, v37, v70, -v1
	v_fmac_f16_e32 v67, v38, v28
	v_fma_f16 v38, v38, v71, -v19
	v_mul_f16_sdwa v70, v48, v73 dst_sel:DWORD dst_unused:UNUSED_PAD src0_sel:WORD_1 src1_sel:DWORD
	v_mul_f16_sdwa v1, v48, v27 dst_sel:DWORD dst_unused:UNUSED_PAD src0_sel:WORD_1 src1_sel:DWORD
	;; [unrolled: 1-line block ×4, first 2 shown]
	v_lshrrev_b32_e32 v78, 16, v31
	v_fmac_f16_e32 v69, v39, v25
	v_fma_f16 v39, v39, v72, -v20
	v_mul_f16_sdwa v72, v50, v75 dst_sel:DWORD dst_unused:UNUSED_PAD src0_sel:WORD_1 src1_sel:DWORD
	v_fmac_f16_e32 v70, v48, v27
	v_fma_f16 v48, v48, v73, -v1
	v_fmac_f16_e32 v71, v49, v30
	v_fma_f16 v30, v49, v74, -v19
	v_mul_f16_sdwa v1, v50, v29 dst_sel:DWORD dst_unused:UNUSED_PAD src0_sel:WORD_1 src1_sel:DWORD
	v_mul_f16_sdwa v49, v44, v77 dst_sel:DWORD dst_unused:UNUSED_PAD src0_sel:WORD_1 src1_sel:DWORD
	;; [unrolled: 1-line block ×3, first 2 shown]
	v_lshrrev_b32_e32 v76, 16, v32
	v_lshrrev_b32_e32 v80, 16, v33
	v_fmac_f16_e32 v72, v50, v29
	v_fma_f16 v50, v50, v75, -v1
	v_fmac_f16_e32 v49, v44, v34
	v_fma_f16 v34, v44, v77, -v20
	v_mul_f16_sdwa v44, v45, v78 dst_sel:DWORD dst_unused:UNUSED_PAD src0_sel:WORD_1 src1_sel:DWORD
	v_mul_f16_sdwa v1, v45, v31 dst_sel:DWORD dst_unused:UNUSED_PAD src0_sel:WORD_1 src1_sel:DWORD
	s_waitcnt lgkmcnt(1)
	v_lshrrev_b32_e32 v79, 16, v63
	v_lshrrev_b32_e32 v83, 16, v22
	v_mul_f16_sdwa v29, v51, v76 dst_sel:DWORD dst_unused:UNUSED_PAD src0_sel:WORD_1 src1_sel:DWORD
	v_mul_f16_sdwa v19, v51, v32 dst_sel:DWORD dst_unused:UNUSED_PAD src0_sel:WORD_1 src1_sel:DWORD
	;; [unrolled: 1-line block ×3, first 2 shown]
	v_fmac_f16_e32 v44, v45, v31
	v_fma_f16 v31, v45, v78, -v1
	v_mul_f16_sdwa v1, v47, v33 dst_sel:DWORD dst_unused:UNUSED_PAD src0_sel:WORD_1 src1_sel:DWORD
	v_lshrrev_b32_e32 v82, 16, v35
	v_fmac_f16_e32 v29, v51, v32
	v_fma_f16 v32, v51, v76, -v19
	v_mul_f16_sdwa v51, v46, v79 dst_sel:DWORD dst_unused:UNUSED_PAD src0_sel:WORD_1 src1_sel:DWORD
	v_mul_f16_sdwa v19, v46, v63 dst_sel:DWORD dst_unused:UNUSED_PAD src0_sel:WORD_1 src1_sel:DWORD
	v_fmac_f16_e32 v73, v47, v33
	v_mul_f16_sdwa v21, v53, v83 dst_sel:DWORD dst_unused:UNUSED_PAD src0_sel:WORD_1 src1_sel:DWORD
	v_fma_f16 v33, v47, v80, -v1
	v_add_f16_e32 v1, v86, v88
	v_lshrrev_b32_e32 v84, 16, v64
	s_waitcnt lgkmcnt(0)
	v_lshrrev_b32_e32 v85, 16, v68
	v_fmac_f16_e32 v51, v46, v63
	v_fma_f16 v45, v46, v79, -v19
	v_mul_f16_sdwa v23, v52, v82 dst_sel:DWORD dst_unused:UNUSED_PAD src0_sel:WORD_1 src1_sel:DWORD
	v_mul_f16_sdwa v19, v52, v35 dst_sel:DWORD dst_unused:UNUSED_PAD src0_sel:WORD_1 src1_sel:DWORD
	;; [unrolled: 1-line block ×3, first 2 shown]
	v_fmac_f16_e32 v21, v53, v22
	v_mul_f16_sdwa v22, v54, v64 dst_sel:DWORD dst_unused:UNUSED_PAD src0_sel:WORD_1 src1_sel:DWORD
	v_fma_f16 v1, -0.5, v1, v2
	v_sub_f16_e32 v46, v40, v43
	v_lshrrev_b32_e32 v17, 16, v2
	v_fmac_f16_e32 v23, v52, v35
	v_fma_f16 v19, v52, v82, -v19
	v_fma_f16 v20, v53, v83, -v20
	v_mul_f16_sdwa v25, v54, v84 dst_sel:DWORD dst_unused:UNUSED_PAD src0_sel:WORD_1 src1_sel:DWORD
	v_mul_f16_sdwa v35, v55, v85 dst_sel:DWORD dst_unused:UNUSED_PAD src0_sel:WORD_1 src1_sel:DWORD
	v_add_f16_e32 v26, v2, v81
	v_fma_f16 v24, v54, v84, -v22
	v_fmamk_f16 v22, v46, 0xbb9c, v1
	v_sub_f16_e32 v47, v41, v42
	v_sub_f16_e32 v27, v81, v86
	;; [unrolled: 1-line block ×3, first 2 shown]
	v_add_f16_e32 v52, v81, v65
	v_mul_f16_sdwa v53, v55, v68 dst_sel:DWORD dst_unused:UNUSED_PAD src0_sel:WORD_1 src1_sel:DWORD
	v_fmac_f16_e32 v1, 0x3b9c, v46
	v_fmac_f16_e32 v25, v54, v64
	;; [unrolled: 1-line block ×3, first 2 shown]
	v_add_f16_e32 v26, v26, v86
	v_fmac_f16_e32 v22, 0xb8b4, v47
	v_add_f16_e32 v54, v27, v28
	v_fma_f16 v2, -0.5, v52, v2
	v_fma_f16 v28, v55, v85, -v53
	v_sub_f16_e32 v52, v86, v81
	v_sub_f16_e32 v53, v88, v65
	v_fmac_f16_e32 v1, 0x38b4, v47
	v_add_f16_e32 v55, v17, v40
	v_add_f16_e32 v63, v41, v42
	;; [unrolled: 1-line block ×3, first 2 shown]
	v_fmac_f16_e32 v22, 0x34f2, v54
	v_fmamk_f16 v27, v47, 0x3b9c, v2
	v_add_f16_e32 v52, v52, v53
	v_fmac_f16_e32 v2, 0xbb9c, v47
	v_add_f16_e32 v47, v55, v41
	v_fma_f16 v53, -0.5, v63, v17
	v_sub_f16_e32 v55, v81, v65
	v_fmac_f16_e32 v1, 0x34f2, v54
	v_add_f16_e32 v54, v40, v43
	v_sub_f16_e32 v64, v40, v41
	v_sub_f16_e32 v40, v41, v40
	;; [unrolled: 1-line block ×3, first 2 shown]
	v_add_f16_e32 v26, v26, v65
	v_fmac_f16_e32 v27, 0xb8b4, v46
	v_fmac_f16_e32 v2, 0x38b4, v46
	v_add_f16_e32 v46, v47, v42
	v_fmamk_f16 v47, v55, 0x3b9c, v53
	v_sub_f16_e32 v63, v86, v88
	v_sub_f16_e32 v65, v43, v42
	v_fmac_f16_e32 v17, -0.5, v54
	v_fmac_f16_e32 v53, 0xbb9c, v55
	v_add_f16_e32 v42, v87, v67
	v_add_f16_e32 v40, v40, v41
	;; [unrolled: 1-line block ×3, first 2 shown]
	v_lshrrev_b32_e32 v16, 16, v3
	v_fmac_f16_e32 v27, 0x34f2, v52
	v_fmac_f16_e32 v2, 0x34f2, v52
	v_add_f16_e32 v46, v46, v43
	v_fmac_f16_e32 v47, 0x38b4, v63
	v_add_f16_e32 v52, v64, v65
	v_fmamk_f16 v54, v63, 0xbb9c, v17
	v_fmac_f16_e32 v53, 0xb8b4, v63
	v_fma_f16 v42, -0.5, v42, v3
	v_sub_f16_e32 v43, v36, v39
	v_fmac_f16_e32 v17, 0x3b9c, v63
	v_add_f16_e32 v41, v41, v87
	v_add_f16_e32 v68, v66, v69
	v_fmac_f16_e32 v47, 0x34f2, v52
	v_fmac_f16_e32 v54, 0x38b4, v55
	;; [unrolled: 1-line block ×3, first 2 shown]
	v_fmamk_f16 v52, v43, 0xbb9c, v42
	v_sub_f16_e32 v63, v37, v38
	v_sub_f16_e32 v64, v66, v87
	;; [unrolled: 1-line block ×3, first 2 shown]
	v_fmac_f16_e32 v17, 0xb8b4, v55
	v_add_f16_e32 v41, v41, v67
	v_fmac_f16_e32 v3, -0.5, v68
	v_fmac_f16_e32 v42, 0x3b9c, v43
	v_add_f16_e32 v68, v16, v36
	v_fmac_f16_e32 v54, 0x34f2, v40
	v_fmac_f16_e32 v52, 0xb8b4, v63
	v_add_f16_e32 v55, v64, v65
	v_fmac_f16_e32 v17, 0x34f2, v40
	v_add_f16_e32 v40, v41, v69
	v_fmamk_f16 v41, v63, 0x3b9c, v3
	v_sub_f16_e32 v64, v87, v66
	v_sub_f16_e32 v65, v67, v69
	v_fmac_f16_e32 v42, 0x38b4, v63
	v_add_f16_e32 v74, v37, v38
	v_fmac_f16_e32 v3, 0xbb9c, v63
	v_add_f16_e32 v63, v68, v37
	;; [unrolled: 2-line block ×3, first 2 shown]
	v_fma_f16 v65, -0.5, v74, v16
	v_sub_f16_e32 v66, v66, v69
	v_fmac_f16_e32 v3, 0x38b4, v43
	v_add_f16_e32 v43, v63, v38
	v_add_f16_e32 v63, v36, v39
	v_sub_f16_e32 v68, v36, v37
	v_sub_f16_e32 v36, v37, v36
	;; [unrolled: 1-line block ×3, first 2 shown]
	v_fmac_f16_e32 v52, 0x34f2, v55
	v_fmac_f16_e32 v42, 0x34f2, v55
	v_fmamk_f16 v55, v66, 0x3b9c, v65
	v_sub_f16_e32 v67, v87, v67
	v_sub_f16_e32 v69, v39, v38
	v_fmac_f16_e32 v16, -0.5, v63
	v_fmac_f16_e32 v65, 0xbb9c, v66
	v_add_f16_e32 v38, v71, v72
	v_add_f16_e32 v36, v36, v37
	;; [unrolled: 1-line block ×3, first 2 shown]
	v_lshrrev_b32_e32 v18, 16, v4
	v_fmac_f16_e32 v41, 0x34f2, v64
	v_fmac_f16_e32 v3, 0x34f2, v64
	v_add_f16_e32 v43, v43, v39
	v_fmac_f16_e32 v55, 0x38b4, v67
	v_add_f16_e32 v63, v68, v69
	v_fmamk_f16 v64, v67, 0xbb9c, v16
	v_fmac_f16_e32 v65, 0xb8b4, v67
	v_fma_f16 v38, -0.5, v38, v4
	v_sub_f16_e32 v39, v48, v32
	v_fmac_f16_e32 v16, 0x3b9c, v67
	v_add_f16_e32 v37, v37, v71
	v_add_f16_e32 v74, v70, v29
	v_fmac_f16_e32 v55, 0x34f2, v63
	v_fmac_f16_e32 v64, 0x38b4, v66
	;; [unrolled: 1-line block ×3, first 2 shown]
	v_fmamk_f16 v63, v39, 0xbb9c, v38
	v_sub_f16_e32 v67, v30, v50
	v_sub_f16_e32 v68, v70, v71
	;; [unrolled: 1-line block ×3, first 2 shown]
	v_fmac_f16_e32 v16, 0xb8b4, v66
	v_add_f16_e32 v37, v37, v72
	v_fma_f16 v4, -0.5, v74, v4
	v_fmac_f16_e32 v38, 0x3b9c, v39
	v_add_f16_e32 v74, v18, v48
	v_fmac_f16_e32 v64, 0x34f2, v36
	v_fmac_f16_e32 v63, 0xb8b4, v67
	v_add_f16_e32 v66, v68, v69
	v_fmac_f16_e32 v16, 0x34f2, v36
	v_add_f16_e32 v36, v37, v29
	v_fmamk_f16 v37, v67, 0x3b9c, v4
	v_sub_f16_e32 v68, v71, v70
	v_sub_f16_e32 v69, v72, v29
	v_fmac_f16_e32 v38, 0x38b4, v67
	v_add_f16_e32 v75, v30, v50
	v_fmac_f16_e32 v4, 0xbb9c, v67
	v_add_f16_e32 v67, v74, v30
	;; [unrolled: 2-line block ×3, first 2 shown]
	v_fma_f16 v69, -0.5, v75, v18
	v_sub_f16_e32 v29, v70, v29
	v_fmac_f16_e32 v4, 0x38b4, v39
	v_add_f16_e32 v39, v67, v50
	v_add_f16_e32 v67, v48, v32
	v_fmac_f16_e32 v63, 0x34f2, v66
	v_fmac_f16_e32 v38, 0x34f2, v66
	v_fmamk_f16 v66, v29, 0x3b9c, v69
	v_sub_f16_e32 v70, v71, v72
	v_sub_f16_e32 v71, v48, v30
	;; [unrolled: 1-line block ×3, first 2 shown]
	v_fmac_f16_e32 v18, -0.5, v67
	v_add_f16_e32 v39, v39, v32
	v_fmac_f16_e32 v69, 0xbb9c, v29
	v_sub_f16_e32 v30, v30, v48
	v_sub_f16_e32 v32, v50, v32
	v_add_f16_e32 v48, v44, v51
	v_lshrrev_b32_e32 v15, 16, v5
	v_fmac_f16_e32 v37, 0x34f2, v68
	v_fmac_f16_e32 v4, 0x34f2, v68
	;; [unrolled: 1-line block ×3, first 2 shown]
	v_add_f16_e32 v67, v71, v72
	v_fmamk_f16 v68, v70, 0xbb9c, v18
	v_fmac_f16_e32 v69, 0xb8b4, v70
	v_add_f16_e32 v30, v30, v32
	v_add_f16_e32 v32, v5, v49
	v_fma_f16 v48, -0.5, v48, v5
	v_sub_f16_e32 v50, v34, v33
	v_fmac_f16_e32 v18, 0x3b9c, v70
	v_add_f16_e32 v74, v49, v73
	v_fmac_f16_e32 v66, 0x34f2, v67
	v_fmac_f16_e32 v68, 0x38b4, v29
	;; [unrolled: 1-line block ×3, first 2 shown]
	v_add_f16_e32 v32, v32, v44
	v_fmamk_f16 v67, v50, 0xbb9c, v48
	v_sub_f16_e32 v70, v31, v45
	v_sub_f16_e32 v71, v49, v44
	v_sub_f16_e32 v72, v73, v51
	v_fmac_f16_e32 v18, 0xb8b4, v29
	v_fmac_f16_e32 v5, -0.5, v74
	v_fmac_f16_e32 v48, 0x3b9c, v50
	v_add_f16_e32 v74, v15, v34
	v_fmac_f16_e32 v68, 0x34f2, v30
	v_add_f16_e32 v29, v32, v51
	;; [unrolled: 2-line block ×3, first 2 shown]
	v_fmac_f16_e32 v18, 0x34f2, v30
	v_fmamk_f16 v30, v70, 0x3b9c, v5
	v_sub_f16_e32 v71, v44, v49
	v_sub_f16_e32 v72, v51, v73
	v_fmac_f16_e32 v48, 0x38b4, v70
	v_add_f16_e32 v75, v31, v45
	v_fmac_f16_e32 v5, 0xbb9c, v70
	v_add_f16_e32 v70, v74, v31
	;; [unrolled: 2-line block ×3, first 2 shown]
	v_fma_f16 v72, -0.5, v75, v15
	v_sub_f16_e32 v49, v49, v73
	v_fmac_f16_e32 v48, 0x34f2, v32
	v_add_f16_e32 v32, v70, v45
	v_add_f16_e32 v70, v34, v33
	;; [unrolled: 1-line block ×3, first 2 shown]
	v_fmac_f16_e32 v30, 0xb8b4, v50
	v_fmac_f16_e32 v5, 0x38b4, v50
	v_fmamk_f16 v50, v49, 0x3b9c, v72
	v_sub_f16_e32 v44, v44, v51
	v_sub_f16_e32 v51, v34, v31
	v_sub_f16_e32 v73, v33, v45
	v_fmac_f16_e32 v15, -0.5, v70
	v_add_f16_e32 v32, v32, v33
	v_fmac_f16_e32 v72, 0xbb9c, v49
	v_sub_f16_e32 v31, v31, v34
	v_sub_f16_e32 v33, v45, v33
	v_add_f16_e32 v34, v21, v25
	v_fmac_f16_e32 v50, 0x38b4, v44
	v_add_f16_e32 v51, v51, v73
	v_fmamk_f16 v70, v44, 0xbb9c, v15
	v_fmac_f16_e32 v72, 0xb8b4, v44
	v_add_f16_e32 v31, v31, v33
	v_fmac_f16_e32 v15, 0x3b9c, v44
	v_add_f16_e32 v33, v0, v23
	v_fma_f16 v34, -0.5, v34, v0
	v_sub_f16_e32 v44, v19, v28
	v_fmac_f16_e32 v30, 0x34f2, v71
	v_fmac_f16_e32 v5, 0x34f2, v71
	;; [unrolled: 1-line block ×6, first 2 shown]
	v_add_f16_e32 v33, v33, v21
	v_fmamk_f16 v45, v44, 0xbb9c, v34
	v_sub_f16_e32 v49, v20, v24
	v_sub_f16_e32 v51, v23, v21
	;; [unrolled: 1-line block ×3, first 2 shown]
	v_fmac_f16_e32 v34, 0x3b9c, v44
	v_add_f16_e32 v73, v23, v35
	v_lshrrev_b32_e32 v14, 16, v0
	v_add_f16_e32 v33, v33, v25
	v_fmac_f16_e32 v45, 0xb8b4, v49
	v_add_f16_e32 v51, v51, v71
	v_fmac_f16_e32 v34, 0x38b4, v49
	v_fmac_f16_e32 v0, -0.5, v73
	v_sub_f16_e32 v71, v21, v23
	v_sub_f16_e32 v73, v25, v35
	v_fmac_f16_e32 v70, 0x34f2, v31
	v_fmac_f16_e32 v15, 0x34f2, v31
	v_add_f16_e32 v31, v33, v35
	v_fmac_f16_e32 v45, 0x34f2, v51
	v_fmac_f16_e32 v34, 0x34f2, v51
	v_fmamk_f16 v33, v49, 0x3b9c, v0
	v_add_f16_e32 v51, v20, v24
	v_fmac_f16_e32 v0, 0xbb9c, v49
	v_sub_f16_e32 v23, v23, v35
	v_add_f16_e32 v35, v71, v73
	v_add_f16_e32 v71, v19, v28
	;; [unrolled: 1-line block ×3, first 2 shown]
	v_fma_f16 v51, -0.5, v51, v14
	v_fmac_f16_e32 v33, 0xb8b4, v44
	v_fmac_f16_e32 v0, 0x38b4, v44
	v_sub_f16_e32 v21, v21, v25
	v_fmac_f16_e32 v14, -0.5, v71
	v_add_f16_e32 v44, v49, v20
	v_fmac_f16_e32 v33, 0x34f2, v35
	v_fmac_f16_e32 v0, 0x34f2, v35
	v_sub_f16_e32 v35, v19, v20
	v_fmamk_f16 v71, v21, 0xbb9c, v14
	v_sub_f16_e32 v19, v20, v19
	v_sub_f16_e32 v20, v24, v28
	v_fmac_f16_e32 v14, 0x3b9c, v21
	v_fmamk_f16 v49, v23, 0x3b9c, v51
	v_fmac_f16_e32 v51, 0xbb9c, v23
	v_fmac_f16_e32 v71, 0x38b4, v23
	v_add_f16_e32 v19, v19, v20
	v_fmac_f16_e32 v14, 0xb8b4, v23
	v_fmac_f16_e32 v49, 0x38b4, v21
	;; [unrolled: 1-line block ×3, first 2 shown]
	v_pack_b32_f16 v21, v22, v47
	v_add_f16_e32 v25, v44, v24
	v_sub_f16_e32 v44, v28, v24
	v_pack_b32_f16 v22, v27, v54
	v_pack_b32_f16 v2, v2, v17
	;; [unrolled: 1-line block ×3, first 2 shown]
	v_fmac_f16_e32 v71, 0x34f2, v19
	v_fmac_f16_e32 v14, 0x34f2, v19
	v_pack_b32_f16 v19, v26, v46
	v_pack_b32_f16 v17, v40, v43
	ds_write_b32 v113, v21 offset:1260
	ds_write_b32 v113, v22 offset:2520
	;; [unrolled: 1-line block ×4, first 2 shown]
	ds_write2_b32 v113, v19, v17 offset1:63
	v_pack_b32_f16 v1, v52, v55
	v_pack_b32_f16 v17, v63, v66
	v_add_f16_e32 v24, v35, v44
	v_pack_b32_f16 v2, v41, v64
	v_pack_b32_f16 v19, v37, v68
	;; [unrolled: 1-line block ×4, first 2 shown]
	v_add_f16_e32 v20, v25, v28
	v_pack_b32_f16 v16, v42, v65
	v_pack_b32_f16 v18, v36, v39
	;; [unrolled: 1-line block ×3, first 2 shown]
	ds_write2_b32 v8, v1, v17 offset0:122 offset1:185
	ds_write2_b32 v11, v2, v19 offset0:181 offset1:244
	;; [unrolled: 1-line block ×3, first 2 shown]
	v_pack_b32_f16 v1, v29, v32
	v_pack_b32_f16 v2, v30, v70
	v_fmac_f16_e32 v49, 0x34f2, v24
	v_pack_b32_f16 v3, v5, v15
	v_pack_b32_f16 v4, v48, v72
	v_fmac_f16_e32 v51, 0x34f2, v24
	ds_write2_b32 v6, v16, v21 offset0:43 offset1:106
	ds_write2_b32 v113, v18, v1 offset0:126 offset1:189
	ds_write_b32 v113, v2 offset:3276
	ds_write_b32 v113, v3 offset:4536
	;; [unrolled: 1-line block ×3, first 2 shown]
	v_pack_b32_f16 v2, v31, v20
	v_pack_b32_f16 v1, v67, v50
	;; [unrolled: 1-line block ×6, first 2 shown]
	ds_write_b32 v113, v2 offset:1008
	ds_write2_b32 v12, v1, v3 offset0:120 offset1:183
	ds_write_b32 v113, v4 offset:3528
	ds_write_b32 v113, v0 offset:4788
	;; [unrolled: 1-line block ×3, first 2 shown]
	s_waitcnt lgkmcnt(0)
	s_barrier
	buffer_gl0_inv
	ds_read2_b32 v[2:3], v113 offset1:63
	s_waitcnt lgkmcnt(0)
	v_lshrrev_b32_e32 v4, 16, v2
	v_mul_f16_sdwa v0, v138, v4 dst_sel:DWORD dst_unused:UNUSED_PAD src0_sel:WORD_1 src1_sel:DWORD
	v_fmac_f16_e32 v0, v138, v2
	v_mul_f16_sdwa v2, v138, v2 dst_sel:DWORD dst_unused:UNUSED_PAD src0_sel:WORD_1 src1_sel:DWORD
	v_cvt_f32_f16_e32 v0, v0
	v_fma_f16 v2, v138, v4, -v2
	v_cvt_f64_f32_e32 v[0:1], v0
	v_cvt_f32_f16_e32 v2, v2
	v_cvt_f64_f32_e32 v[4:5], v2
	v_mul_f64 v[12:13], v[0:1], s[4:5]
	ds_read2_b32 v[1:2], v11 offset0:13 offset1:76
	v_mul_f64 v[4:5], v[4:5], s[4:5]
	s_waitcnt lgkmcnt(0)
	v_lshrrev_b32_e32 v18, 16, v1
	v_and_or_b32 v0, 0x1ff, v13, v12
	v_lshrrev_b32_e32 v12, 8, v13
	v_bfe_u32 v14, v13, 20, 11
	v_mul_f16_sdwa v19, v137, v18 dst_sel:DWORD dst_unused:UNUSED_PAD src0_sel:WORD_1 src1_sel:DWORD
	v_cmp_ne_u32_e64 s0, 0, v0
	v_and_or_b32 v4, 0x1ff, v5, v4
	v_lshrrev_b32_e32 v17, 8, v5
	v_bfe_u32 v20, v5, 20, 11
	v_fmac_f16_e32 v19, v137, v1
	v_cndmask_b32_e64 v0, 0, 1, s0
	v_cmp_ne_u32_e64 s0, 0, v4
	v_add_nc_u32_e32 v21, 0xfffffc10, v14
	v_mul_f16_sdwa v1, v137, v1 dst_sel:DWORD dst_unused:UNUSED_PAD src0_sel:WORD_1 src1_sel:DWORD
	v_lshrrev_b32_e32 v5, 16, v5
	v_and_or_b32 v12, 0xffe, v12, v0
	v_sub_nc_u32_e32 v0, 0x3f1, v14
	v_cndmask_b32_e64 v4, 0, 1, s0
	v_cvt_f32_f16_e32 v14, v19
	v_fma_f16 v1, v137, v18, -v1
	v_or_b32_e32 v15, 0x1000, v12
	v_med3_i32 v0, v0, 0, 13
	v_and_or_b32 v4, 0xffe, v17, v4
	v_sub_nc_u32_e32 v17, 0x3f1, v20
	v_lshl_or_b32 v23, v21, 12, v12
	v_cvt_f32_f16_e32 v1, v1
	v_lshrrev_b32_e32 v16, v0, v15
	v_or_b32_e32 v19, 0x1000, v4
	v_med3_i32 v22, v17, 0, 13
	v_cmp_eq_u32_e64 s2, 0x40f, v21
	v_lshlrev_b32_e32 v0, v0, v16
	v_lshrrev_b32_e32 v24, v22, v19
	v_cmp_ne_u32_e64 s0, v0, v15
	v_cvt_f64_f32_e32 v[14:15], v14
	v_lshlrev_b32_e32 v22, v22, v24
	v_cndmask_b32_e64 v0, 0, 1, s0
	v_cmp_gt_i32_e64 s0, 1, v21
	v_or_b32_e32 v0, v16, v0
	v_mad_u64_u32 v[16:17], null, s10, v60, 0
	v_cndmask_b32_e64 v23, v23, v0, s0
	v_cmp_ne_u32_e64 s0, v22, v19
	v_add_nc_u32_e32 v22, 0xfffffc10, v20
	v_mov_b32_e32 v0, v17
	v_and_b32_e32 v25, 7, v23
	v_cndmask_b32_e64 v17, 0, 1, s0
	v_lshrrev_b32_e32 v19, 2, v23
	v_lshl_or_b32 v20, v22, 12, v4
	v_mul_f64 v[14:15], v[14:15], s[4:5]
	v_cmp_lt_i32_e64 s0, 5, v25
	v_cmp_eq_u32_e64 s1, 3, v25
	v_or_b32_e32 v17, v24, v17
	s_or_b32 s0, s1, s0
	v_add_co_ci_u32_e64 v19, s0, 0, v19, s0
	v_cmp_gt_i32_e64 s0, 1, v22
	v_cndmask_b32_e64 v23, v20, v17, s0
	v_cmp_ne_u32_e64 s0, 0, v12
	v_cvt_f64_f32_e32 v[17:18], v1
	v_and_b32_e32 v25, 7, v23
	v_cndmask_b32_e64 v12, 0, 1, s0
	v_cmp_gt_i32_e64 s0, 31, v21
	v_cmp_eq_u32_e64 s1, 3, v25
	v_lshl_or_b32 v12, v12, 9, 0x7c00
	v_cndmask_b32_e64 v24, 0x7c00, v19, s0
	v_cmp_lt_i32_e64 s0, 5, v25
	v_mad_u64_u32 v[19:20], null, s11, v60, v[0:1]
	v_lshrrev_b32_e32 v0, 2, v23
	v_cndmask_b32_e64 v24, v24, v12, s2
	s_or_b32 s0, s1, s0
	v_and_or_b32 v1, 0x1ff, v15, v14
	v_lshrrev_b32_e32 v20, 8, v15
	v_add_co_ci_u32_e64 v12, s0, 0, v0, s0
	v_cmp_ne_u32_e64 s0, 0, v4
	v_bfe_u32 v25, v15, 20, 11
	v_lshrrev_b32_e32 v23, 16, v13
	v_cndmask_b32_e64 v4, 0, 1, s0
	v_cmp_ne_u32_e64 s0, 0, v1
	ds_read2_b32 v[0:1], v10 offset0:26 offset1:89
	v_and_or_b32 v23, 0x8000, v23, v24
	v_lshl_or_b32 v4, v4, 9, 0x7c00
	v_cndmask_b32_e64 v14, 0, 1, s0
	v_cmp_gt_i32_e64 s0, 31, v22
	v_and_b32_e32 v23, 0xffff, v23
	v_and_or_b32 v14, 0xffe, v20, v14
	v_cndmask_b32_e64 v26, 0x7c00, v12, s0
	v_mul_f64 v[12:13], v[17:18], s[4:5]
	v_sub_nc_u32_e32 v17, 0x3f1, v25
	v_mad_u64_u32 v[20:21], null, s8, v135, 0
	v_or_b32_e32 v18, 0x1000, v14
	v_cmp_eq_u32_e64 s0, 0x40f, v22
	v_med3_i32 v27, v17, 0, 13
	v_mov_b32_e32 v17, v19
	v_add_nc_u32_e32 v25, 0xfffffc10, v25
	s_waitcnt lgkmcnt(0)
	v_lshrrev_b32_e32 v24, 16, v0
	v_cndmask_b32_e64 v22, v26, v4, s0
	v_lshrrev_b32_e32 v19, v27, v18
	v_mov_b32_e32 v4, v21
	v_lshl_or_b32 v28, v25, 12, v14
	v_and_or_b32 v22, 0x8000, v5, v22
	v_lshlrev_b32_e32 v21, v27, v19
	v_mad_u64_u32 v[4:5], null, s9, v135, v[4:5]
	v_mul_f16_sdwa v5, v136, v24 dst_sel:DWORD dst_unused:UNUSED_PAD src0_sel:WORD_1 src1_sel:DWORD
	v_lshl_or_b32 v22, v22, 16, v23
	v_cmp_ne_u32_e64 s0, v21, v18
	v_and_or_b32 v12, 0x1ff, v13, v12
	v_lshrrev_b32_e32 v21, 8, v13
	v_fmac_f16_e32 v5, v136, v0
	v_bfe_u32 v26, v13, 20, 11
	v_cndmask_b32_e64 v18, 0, 1, s0
	v_cmp_ne_u32_e64 s0, 0, v12
	v_mul_f16_sdwa v0, v136, v0 dst_sel:DWORD dst_unused:UNUSED_PAD src0_sel:WORD_1 src1_sel:DWORD
	v_cvt_f32_f16_e32 v5, v5
	v_or_b32_e32 v27, v19, v18
	v_cndmask_b32_e64 v12, 0, 1, s0
	v_cmp_gt_i32_e64 s0, 1, v25
	v_cvt_f64_f32_e32 v[18:19], v5
	v_fma_f16 v0, v136, v24, -v0
	v_and_or_b32 v12, 0xffe, v21, v12
	v_sub_nc_u32_e32 v21, 0x3f1, v26
	v_cndmask_b32_e64 v27, v28, v27, s0
	v_cvt_f32_f16_e32 v0, v0
	v_or_b32_e32 v28, 0x1000, v12
	v_med3_i32 v29, v21, 0, 13
	v_mov_b32_e32 v21, v4
	v_lshlrev_b64 v[4:5], 2, v[16:17]
	v_and_b32_e32 v16, 7, v27
	v_lshrrev_b32_e32 v23, v29, v28
	v_add_co_u32 v30, s0, s6, v4
	v_lshlrev_b32_e32 v17, v29, v23
	v_add_co_ci_u32_e64 v31, s0, s7, v5, s0
	v_cmp_lt_i32_e64 s0, 5, v16
	v_cmp_eq_u32_e64 s1, 3, v16
	v_cmp_ne_u32_e64 s2, v17, v28
	v_mul_f64 v[16:17], v[18:19], s[4:5]
	v_cvt_f64_f32_e32 v[18:19], v0
	v_lshrrev_b32_e32 v0, 2, v27
	s_or_b32 s0, s1, s0
	v_lshlrev_b64 v[4:5], 2, v[20:21]
	v_cndmask_b32_e64 v20, 0, 1, s2
	v_add_nc_u32_e32 v21, 0xfffffc10, v26
	v_add_co_ci_u32_e64 v0, s0, 0, v0, s0
	v_cmp_ne_u32_e64 s0, 0, v14
	v_or_b32_e32 v20, v23, v20
	v_lshl_or_b32 v23, v21, 12, v12
	v_add_co_u32 v4, s2, v30, v4
	v_cndmask_b32_e64 v14, 0, 1, s0
	v_cmp_gt_i32_e64 s0, 1, v21
	v_add_co_ci_u32_e64 v5, s2, v31, v5, s2
	s_mul_i32 s2, s8, 0x20d
	v_lshl_or_b32 v14, v14, 9, 0x7c00
	v_cndmask_b32_e64 v20, v23, v20, s0
	v_cmp_gt_i32_e64 s0, 31, v25
	v_and_or_b32 v16, 0x1ff, v17, v16
	global_store_dword v[4:5], v22, off
	v_lshrrev_b32_e32 v23, 16, v15
	v_and_b32_e32 v22, 7, v20
	v_cndmask_b32_e64 v0, 0x7c00, v0, s0
	v_cmp_eq_u32_e64 s0, 0x40f, v25
	v_cmp_ne_u32_e64 s1, 0, v16
	v_lshrrev_b32_e32 v20, 2, v20
	v_cndmask_b32_e64 v0, v0, v14, s0
	v_mul_f64 v[14:15], v[18:19], s[4:5]
	v_cmp_lt_i32_e64 s0, 5, v22
	v_cndmask_b32_e64 v16, 0, 1, s1
	v_cmp_eq_u32_e64 s1, 3, v22
	v_lshrrev_b32_e32 v18, 8, v17
	v_bfe_u32 v19, v17, 20, 11
	v_and_or_b32 v0, 0x8000, v23, v0
	v_lshrrev_b32_e32 v23, 16, v3
	s_or_b32 s0, s1, s0
	v_and_or_b32 v16, 0xffe, v18, v16
	v_add_co_ci_u32_e64 v20, s0, 0, v20, s0
	v_sub_nc_u32_e32 v18, 0x3f1, v19
	v_cmp_ne_u32_e64 s0, 0, v12
	v_or_b32_e32 v22, 0x1000, v16
	v_mul_f16_sdwa v25, v134, v23 dst_sel:DWORD dst_unused:UNUSED_PAD src0_sel:WORD_1 src1_sel:DWORD
	v_add_nc_u32_e32 v26, 0xfffffc10, v19
	v_med3_i32 v18, v18, 0, 13
	v_cndmask_b32_e64 v12, 0, 1, s0
	v_cmp_gt_i32_e64 s0, 31, v21
	v_fmac_f16_e32 v25, v134, v3
	v_mul_f16_sdwa v3, v134, v3 dst_sel:DWORD dst_unused:UNUSED_PAD src0_sel:WORD_1 src1_sel:DWORD
	v_lshrrev_b32_e32 v24, v18, v22
	v_lshl_or_b32 v12, v12, 9, 0x7c00
	v_cndmask_b32_e64 v20, 0x7c00, v20, s0
	v_and_or_b32 v14, 0x1ff, v15, v14
	v_cmp_eq_u32_e64 s0, 0x40f, v21
	v_lshrrev_b32_e32 v21, 16, v13
	v_cvt_f32_f16_e32 v25, v25
	s_mul_i32 s1, s9, 0x20d
	v_fma_f16 v3, v134, v23, -v3
	v_cndmask_b32_e64 v20, v20, v12, s0
	v_lshlrev_b32_e32 v12, v18, v24
	v_cmp_ne_u32_e64 s0, 0, v14
	v_lshrrev_b32_e32 v14, 8, v15
	v_bfe_u32 v18, v15, 20, 11
	v_and_or_b32 v20, 0x8000, v21, v20
	v_cvt_f32_f16_e32 v3, v3
	v_cndmask_b32_e64 v13, 0, 1, s0
	v_cmp_ne_u32_e64 s0, v12, v22
	v_sub_nc_u32_e32 v19, 0x3f1, v18
	v_and_b32_e32 v0, 0xffff, v0
	v_lshrrev_b32_e32 v17, 16, v17
	v_and_or_b32 v14, 0xffe, v14, v13
	v_cndmask_b32_e64 v22, 0, 1, s0
	v_cvt_f64_f32_e32 v[12:13], v25
	v_med3_i32 v19, v19, 0, 13
	v_cmp_gt_i32_e64 s0, 1, v26
	v_or_b32_e32 v25, 0x1000, v14
	v_or_b32_e32 v22, v24, v22
	v_lshl_or_b32 v24, v26, 12, v16
	v_lshl_or_b32 v0, v20, 16, v0
	v_cndmask_b32_e64 v21, v24, v22, s0
	v_lshrrev_b32_e32 v22, v19, v25
	s_mul_hi_u32 s0, s8, 0x20d
	s_add_i32 s3, s0, s1
	v_and_b32_e32 v24, 7, v21
	v_lshlrev_b32_e32 v19, v19, v22
	v_lshrrev_b32_e32 v21, 2, v21
	s_lshl_b64 s[6:7], s[2:3], 2
	v_cmp_lt_i32_e64 s0, 5, v24
	v_cmp_ne_u32_e64 s1, v19, v25
	v_mul_f64 v[12:13], v[12:13], s[4:5]
	v_add_nc_u32_e32 v25, 0xfffffc10, v18
	v_cvt_f64_f32_e32 v[18:19], v3
	v_cndmask_b32_e64 v23, 0, 1, s1
	v_cmp_eq_u32_e64 s1, 3, v24
	v_or_b32_e32 v3, v22, v23
	s_or_b32 s0, s1, s0
	v_lshl_or_b32 v22, v25, 12, v14
	v_add_co_ci_u32_e64 v21, s0, 0, v21, s0
	v_cmp_ne_u32_e64 s0, 0, v16
	v_lshrrev_b32_e32 v23, 16, v2
	v_cndmask_b32_e64 v16, 0, 1, s0
	v_cmp_gt_i32_e64 s0, 1, v25
	v_and_or_b32 v12, 0x1ff, v13, v12
	v_lshl_or_b32 v16, v16, 9, 0x7c00
	v_cndmask_b32_e64 v3, v22, v3, s0
	v_cmp_gt_i32_e64 s0, 31, v26
	v_mul_f64 v[18:19], v[18:19], s[4:5]
	v_cmp_ne_u32_e64 s2, 0, v12
	v_and_b32_e32 v20, 7, v3
	v_cndmask_b32_e64 v21, 0x7c00, v21, s0
	v_cmp_eq_u32_e64 s0, 0x40f, v26
	v_lshrrev_b32_e32 v3, 2, v3
	v_cndmask_b32_e64 v12, 0, 1, s2
	v_cmp_eq_u32_e64 s1, 3, v20
	v_cndmask_b32_e64 v16, v21, v16, s0
	v_cmp_lt_i32_e64 s0, 5, v20
	v_lshrrev_b32_e32 v20, 8, v13
	v_bfe_u32 v21, v13, 20, 11
	v_and_or_b32 v16, 0x8000, v17, v16
	s_or_b32 s0, s1, s0
	v_and_or_b32 v12, 0xffe, v20, v12
	v_add_co_ci_u32_e64 v3, s0, 0, v3, s0
	v_cmp_ne_u32_e64 s0, 0, v14
	v_sub_nc_u32_e32 v20, 0x3f1, v21
	v_or_b32_e32 v22, 0x1000, v12
	v_and_or_b32 v18, 0x1ff, v19, v18
	v_bfe_u32 v24, v19, 20, 11
	v_cndmask_b32_e64 v14, 0, 1, s0
	v_cmp_gt_i32_e64 s0, 31, v25
	v_med3_i32 v20, v20, 0, 13
	v_and_b32_e32 v16, 0xffff, v16
	v_lshl_or_b32 v14, v14, 9, 0x7c00
	v_cndmask_b32_e64 v3, 0x7c00, v3, s0
	v_cmp_eq_u32_e64 s0, 0x40f, v25
	v_cndmask_b32_e64 v3, v3, v14, s0
	v_lshrrev_b32_e32 v14, 16, v15
	v_lshrrev_b32_e32 v15, v20, v22
	v_cmp_ne_u32_e64 s0, 0, v18
	v_mul_f16_sdwa v18, v133, v23 dst_sel:DWORD dst_unused:UNUSED_PAD src0_sel:WORD_1 src1_sel:DWORD
	v_and_or_b32 v17, 0x8000, v14, v3
	v_lshlrev_b32_e32 v3, v20, v15
	v_cndmask_b32_e64 v14, 0, 1, s0
	v_lshrrev_b32_e32 v20, 8, v19
	v_fmac_f16_e32 v18, v133, v2
	v_mul_f16_sdwa v2, v133, v2 dst_sel:DWORD dst_unused:UNUSED_PAD src0_sel:WORD_1 src1_sel:DWORD
	v_cmp_ne_u32_e64 s0, v3, v22
	v_add_nc_u32_e32 v22, 0xfffffc10, v21
	v_and_or_b32 v25, 0xffe, v20, v14
	v_sub_nc_u32_e32 v14, 0x3f1, v24
	v_fma_f16 v2, v133, v23, -v2
	v_cndmask_b32_e64 v3, 0, 1, s0
	v_cmp_gt_i32_e64 s0, 1, v22
	v_or_b32_e32 v20, 0x1000, v25
	v_med3_i32 v21, v14, 0, 13
	v_cvt_f32_f16_e32 v2, v2
	v_or_b32_e32 v3, v15, v3
	v_cvt_f32_f16_e32 v15, v18
	v_lshl_or_b32 v18, v22, 12, v12
	v_lshrrev_b32_e32 v26, v21, v20
	v_add_nc_u32_e32 v23, 0xfffffc10, v24
	v_cvt_f64_f32_e32 v[14:15], v15
	v_cndmask_b32_e64 v18, v18, v3, s0
	v_lshlrev_b32_e32 v21, v21, v26
	v_add_co_u32 v3, s0, v4, s6
	v_add_co_ci_u32_e64 v4, s0, s7, v5, s0
	v_and_b32_e32 v27, 7, v18
	v_cmp_ne_u32_e64 s1, v21, v20
	v_lshl_or_b32 v5, v17, 16, v16
	v_add_co_u32 v16, s0, v3, s6
	v_add_co_ci_u32_e64 v17, s0, s7, v4, s0
	v_cmp_lt_i32_e64 s0, 5, v27
	v_cndmask_b32_e64 v20, 0, 1, s1
	v_cmp_eq_u32_e64 s1, 3, v27
	v_lshrrev_b32_e32 v18, 2, v18
	global_store_dword v[3:4], v0, off
	global_store_dword v[16:17], v5, off
	v_lshrrev_b32_e32 v5, 16, v13
	v_or_b32_e32 v24, v26, v20
	s_or_b32 s0, s1, s0
	v_mul_f64 v[14:15], v[14:15], s[4:5]
	v_add_co_ci_u32_e64 v18, s0, 0, v18, s0
	v_cmp_ne_u32_e64 s0, 0, v12
	v_cvt_f64_f32_e32 v[20:21], v2
	v_lshl_or_b32 v2, v23, 12, v25
	v_cndmask_b32_e64 v12, 0, 1, s0
	v_cmp_gt_i32_e64 s0, 1, v23
	v_lshl_or_b32 v12, v12, 9, 0x7c00
	v_cndmask_b32_e64 v2, v2, v24, s0
	v_cmp_gt_i32_e64 s0, 31, v22
	v_and_b32_e32 v0, 7, v2
	v_cndmask_b32_e64 v18, 0x7c00, v18, s0
	v_cmp_eq_u32_e64 s0, 0x40f, v22
	v_lshrrev_b32_e32 v13, 8, v15
	v_cmp_eq_u32_e64 s1, 3, v0
	v_cndmask_b32_e64 v4, v18, v12, s0
	v_and_or_b32 v12, 0x1ff, v15, v14
	v_cmp_lt_i32_e64 s0, 5, v0
	v_lshrrev_b32_e32 v0, 2, v2
	v_mul_f64 v[2:3], v[20:21], s[4:5]
	v_bfe_u32 v14, v15, 20, 11
	v_cmp_ne_u32_e64 s2, 0, v12
	s_or_b32 s0, s1, s0
	v_lshrrev_b32_e32 v21, 16, v1
	v_add_co_ci_u32_e64 v0, s0, 0, v0, s0
	v_cndmask_b32_e64 v12, 0, 1, s2
	v_cmp_ne_u32_e64 s0, 0, v25
	v_mul_f16_sdwa v22, v132, v21 dst_sel:DWORD dst_unused:UNUSED_PAD src0_sel:WORD_1 src1_sel:DWORD
	s_mul_hi_u32 s1, s8, 0xfffffc25
	v_lshrrev_b32_e32 v15, 16, v15
	v_and_or_b32 v12, 0xffe, v13, v12
	v_cndmask_b32_e64 v18, 0, 1, s0
	v_sub_nc_u32_e32 v13, 0x3f1, v14
	v_cmp_gt_i32_e64 s0, 31, v23
	v_fmac_f16_e32 v22, v132, v1
	v_or_b32_e32 v20, 0x1000, v12
	v_lshl_or_b32 v18, v18, 9, 0x7c00
	v_med3_i32 v13, v13, 0, 13
	v_cndmask_b32_e64 v0, 0x7c00, v0, s0
	v_cmp_eq_u32_e64 s0, 0x40f, v23
	v_and_or_b32 v2, 0x1ff, v3, v2
	v_and_or_b32 v23, 0x8000, v5, v4
	v_lshrrev_b32_e32 v5, 8, v3
	v_add_nc_u32_e32 v14, 0xfffffc10, v14
	v_cndmask_b32_e64 v0, v0, v18, s0
	v_lshrrev_b32_e32 v18, 16, v19
	v_lshrrev_b32_e32 v19, v13, v20
	v_cmp_ne_u32_e64 s0, 0, v2
	s_sub_i32 s1, s1, s8
	v_mul_f16_sdwa v1, v132, v1 dst_sel:DWORD dst_unused:UNUSED_PAD src0_sel:WORD_1 src1_sel:DWORD
	v_and_or_b32 v0, 0x8000, v18, v0
	v_lshlrev_b32_e32 v4, v13, v19
	v_cndmask_b32_e64 v2, 0, 1, s0
	v_bfe_u32 v13, v3, 20, 11
	v_cvt_f32_f16_e32 v18, v22
	v_fma_f16 v1, v132, v21, -v1
	v_cmp_ne_u32_e64 s0, v4, v20
	v_and_or_b32 v22, 0xffe, v5, v2
	v_sub_nc_u32_e32 v2, 0x3f1, v13
	v_cvt_f64_f32_e32 v[4:5], v18
	v_cvt_f32_f16_e32 v1, v1
	v_cndmask_b32_e64 v20, 0, 1, s0
	v_cmp_gt_i32_e64 s0, 1, v14
	v_med3_i32 v2, v2, 0, 13
	v_and_b32_e32 v23, 0xffff, v23
	s_mulk_i32 s8, 0xfc25
	v_or_b32_e32 v18, v19, v20
	v_lshl_or_b32 v19, v14, 12, v12
	v_or_b32_e32 v20, 0x1000, v22
	v_lshl_or_b32 v0, v0, 16, v23
	v_cndmask_b32_e64 v18, v19, v18, s0
	v_lshrrev_b32_e32 v19, v2, v20
	s_mul_i32 s0, s9, 0xfffffc25
	s_add_i32 s9, s1, s0
	v_and_b32_e32 v24, 7, v18
	v_lshlrev_b32_e32 v2, v2, v19
	v_lshrrev_b32_e32 v18, 2, v18
	s_lshl_b64 s[8:9], s[8:9], 2
	v_mul_f64 v[4:5], v[4:5], s[4:5]
	v_cmp_lt_i32_e64 s0, 5, v24
	v_cmp_eq_u32_e64 s1, 3, v24
	v_cmp_ne_u32_e64 s2, v2, v20
	v_add_nc_u32_e32 v20, 0xfffffc10, v13
	s_or_b32 s0, s1, s0
	v_cndmask_b32_e64 v2, 0, 1, s2
	v_add_co_ci_u32_e64 v13, s0, 0, v18, s0
	v_cmp_ne_u32_e64 s0, 0, v12
	v_lshl_or_b32 v18, v20, 12, v22
	v_or_b32_e32 v2, v19, v2
	v_cndmask_b32_e64 v19, 0, 1, s0
	v_cmp_gt_i32_e64 s0, 1, v20
	v_lshl_or_b32 v19, v19, 9, 0x7c00
	v_cndmask_b32_e64 v18, v18, v2, s0
	v_cmp_gt_i32_e64 s0, 31, v14
	v_and_or_b32 v4, 0x1ff, v5, v4
	v_and_b32_e32 v23, 7, v18
	v_cndmask_b32_e64 v21, 0x7c00, v13, s0
	v_cvt_f64_f32_e32 v[12:13], v1
	v_cmp_eq_u32_e64 s0, 0x40f, v14
	ds_read2_b32 v[1:2], v113 offset0:126 offset1:189
	v_cmp_eq_u32_e64 s1, 3, v23
	v_lshrrev_b32_e32 v18, 2, v18
	v_cmp_ne_u32_e64 s2, 0, v4
	v_cndmask_b32_e64 v14, v21, v19, s0
	v_cmp_lt_i32_e64 s0, 5, v23
	v_lshrrev_b32_e32 v19, 8, v5
	v_bfe_u32 v21, v5, 20, 11
	v_cndmask_b32_e64 v4, 0, 1, s2
	s_or_b32 s0, s1, s0
	v_add_co_ci_u32_e64 v18, s0, 0, v18, s0
	v_cmp_ne_u32_e64 s0, 0, v22
	v_and_or_b32 v19, 0xffe, v19, v4
	v_sub_nc_u32_e32 v4, 0x3f1, v21
	v_cndmask_b32_e64 v22, 0, 1, s0
	v_mul_f64 v[12:13], v[12:13], s[4:5]
	v_cmp_gt_i32_e64 s0, 31, v20
	v_or_b32_e32 v24, 0x1000, v19
	v_med3_i32 v25, v4, 0, 13
	v_lshl_or_b32 v22, v22, 9, 0x7c00
	s_waitcnt lgkmcnt(0)
	v_lshrrev_b32_e32 v23, 16, v1
	v_cndmask_b32_e64 v18, 0x7c00, v18, s0
	v_cmp_eq_u32_e64 s0, 0x40f, v20
	v_lshrrev_b32_e32 v20, 16, v3
	v_mul_f16_sdwa v26, v131, v23 dst_sel:DWORD dst_unused:UNUSED_PAD src0_sel:WORD_1 src1_sel:DWORD
	v_cndmask_b32_e64 v18, v18, v22, s0
	v_lshrrev_b32_e32 v22, v25, v24
	v_add_co_u32 v3, s0, v16, s8
	v_fmac_f16_e32 v26, v131, v1
	v_add_co_ci_u32_e64 v4, s0, s9, v17, s0
	v_lshlrev_b32_e32 v16, v25, v22
	v_and_or_b32 v17, 0x8000, v15, v14
	v_cvt_f32_f16_e32 v14, v26
	v_and_or_b32 v12, 0x1ff, v13, v12
	v_and_or_b32 v18, 0x8000, v20, v18
	v_cmp_ne_u32_e64 s0, v16, v24
	v_add_nc_u32_e32 v20, 0xfffffc10, v21
	v_cvt_f64_f32_e32 v[14:15], v14
	v_lshrrev_b32_e32 v21, 8, v13
	v_bfe_u32 v24, v13, 20, 11
	v_cndmask_b32_e64 v16, 0, 1, s0
	v_cmp_ne_u32_e64 s0, 0, v12
	v_and_b32_e32 v17, 0xffff, v17
	v_mul_f16_sdwa v1, v131, v1 dst_sel:DWORD dst_unused:UNUSED_PAD src0_sel:WORD_1 src1_sel:DWORD
	global_store_dword v[3:4], v0, off
	v_or_b32_e32 v16, v22, v16
	v_cndmask_b32_e64 v12, 0, 1, s0
	v_lshl_or_b32 v22, v20, 12, v19
	v_cmp_gt_i32_e64 s0, 1, v20
	v_lshl_or_b32 v18, v18, 16, v17
	v_fma_f16 v1, v131, v23, -v1
	v_and_or_b32 v12, 0xffe, v21, v12
	v_sub_nc_u32_e32 v21, 0x3f1, v24
	v_cndmask_b32_e64 v22, v22, v16, s0
	v_add_co_u32 v16, s0, v3, s6
	v_or_b32_e32 v25, 0x1000, v12
	v_med3_i32 v21, v21, 0, 13
	v_and_b32_e32 v27, 7, v22
	v_mul_f64 v[14:15], v[14:15], s[4:5]
	v_add_co_ci_u32_e64 v17, s0, s7, v4, s0
	v_lshrrev_b32_e32 v26, v21, v25
	v_cmp_lt_i32_e64 s0, 5, v27
	v_cmp_eq_u32_e64 s1, 3, v27
	v_lshrrev_b32_e32 v3, 2, v22
	v_cvt_f32_f16_e32 v1, v1
	v_lshlrev_b32_e32 v0, v21, v26
	global_store_dword v[16:17], v18, off
	s_or_b32 s0, s1, s0
	v_add_nc_u32_e32 v18, 0xfffffc10, v24
	v_add_co_ci_u32_e64 v21, s0, 0, v3, s0
	v_cmp_ne_u32_e64 s2, v0, v25
	v_cmp_ne_u32_e64 s0, 0, v19
	v_cvt_f64_f32_e32 v[3:4], v1
	v_lshl_or_b32 v22, v18, 12, v12
	v_lshrrev_b32_e32 v13, 16, v13
	v_cndmask_b32_e64 v0, 0, 1, s2
	v_cndmask_b32_e64 v19, 0, 1, s0
	v_cmp_gt_i32_e64 s0, 1, v18
	v_and_or_b32 v14, 0x1ff, v15, v14
	v_lshrrev_b32_e32 v23, 8, v15
	v_or_b32_e32 v0, v26, v0
	v_lshl_or_b32 v19, v19, 9, 0x7c00
	v_bfe_u32 v24, v15, 20, 11
	v_lshrrev_b32_e32 v15, 16, v15
	v_cndmask_b32_e64 v22, v22, v0, s0
	v_cmp_gt_i32_e64 s0, 31, v20
	ds_read2_b32 v[0:1], v11 offset0:139 offset1:202
	v_cndmask_b32_e64 v11, 0x7c00, v21, s0
	v_cmp_ne_u32_e64 s0, 0, v14
	v_and_b32_e32 v21, 7, v22
	v_cndmask_b32_e64 v14, 0, 1, s0
	v_cmp_eq_u32_e64 s0, 0x40f, v20
	v_cmp_eq_u32_e64 s1, 3, v21
	v_and_or_b32 v20, 0xffe, v23, v14
	v_cndmask_b32_e64 v11, v11, v19, s0
	v_cmp_lt_i32_e64 s0, 5, v21
	v_lshrrev_b32_e32 v19, 16, v5
	v_mul_f64 v[4:5], v[3:4], s[4:5]
	v_lshrrev_b32_e32 v21, 2, v22
	v_sub_nc_u32_e32 v14, 0x3f1, v24
	s_or_b32 s0, s1, s0
	v_or_b32_e32 v22, 0x1000, v20
	v_and_or_b32 v11, 0x8000, v19, v11
	v_add_co_ci_u32_e64 v21, s0, 0, v21, s0
	v_med3_i32 v3, v14, 0, 13
	s_waitcnt lgkmcnt(0)
	v_lshrrev_b32_e32 v14, 16, v0
	v_cmp_ne_u32_e64 s0, 0, v12
	v_and_b32_e32 v11, 0xffff, v11
	v_lshrrev_b32_e32 v25, v3, v22
	v_mul_f16_sdwa v23, v130, v14 dst_sel:DWORD dst_unused:UNUSED_PAD src0_sel:WORD_1 src1_sel:DWORD
	v_cndmask_b32_e64 v12, 0, 1, s0
	v_cmp_gt_i32_e64 s0, 31, v18
	v_lshlrev_b32_e32 v3, v3, v25
	v_fmac_f16_e32 v23, v130, v0
	v_lshl_or_b32 v12, v12, 9, 0x7c00
	v_cndmask_b32_e64 v21, 0x7c00, v21, s0
	v_cmp_eq_u32_e64 s0, 0x40f, v18
	v_mul_f16_sdwa v0, v130, v0 dst_sel:DWORD dst_unused:UNUSED_PAD src0_sel:WORD_1 src1_sel:DWORD
	v_cvt_f32_f16_e32 v18, v23
	v_lshrrev_b32_e32 v23, 8, v5
	v_cndmask_b32_e64 v12, v21, v12, s0
	v_cmp_ne_u32_e64 s0, v3, v22
	v_and_or_b32 v22, 0x1ff, v5, v4
	v_add_nc_u32_e32 v21, 0xfffffc10, v24
	v_cvt_f64_f32_e32 v[3:4], v18
	v_bfe_u32 v24, v5, 20, 11
	v_cndmask_b32_e64 v19, 0, 1, s0
	v_cmp_ne_u32_e64 s0, 0, v22
	v_and_or_b32 v12, 0x8000, v13, v12
	v_fma_f16 v0, v130, v14, -v0
	v_sub_nc_u32_e32 v13, 0x3f1, v24
	v_or_b32_e32 v18, v25, v19
	v_lshl_or_b32 v19, v21, 12, v20
	v_cndmask_b32_e64 v22, 0, 1, s0
	v_cmp_gt_i32_e64 s0, 1, v21
	v_med3_i32 v25, v13, 0, 13
	v_lshl_or_b32 v26, v12, 16, v11
	v_cvt_f32_f16_e32 v0, v0
	v_add_co_u32 v13, s2, v16, s6
	v_cndmask_b32_e64 v18, v19, v18, s0
	v_and_or_b32 v19, 0xffe, v23, v22
	v_add_co_ci_u32_e64 v14, s2, s7, v17, s2
	v_cvt_f64_f32_e32 v[16:17], v0
	v_and_b32_e32 v22, 7, v18
	v_or_b32_e32 v23, 0x1000, v19
	v_mul_f64 v[11:12], v[3:4], s[4:5]
	v_lshrrev_b32_e32 v3, 2, v18
	v_add_nc_u32_e32 v18, 0xfffffc10, v24
	v_cmp_lt_i32_e64 s0, 5, v22
	v_cmp_eq_u32_e64 s1, 3, v22
	v_lshrrev_b32_e32 v22, v25, v23
	global_store_dword v[13:14], v26, off
	v_lshrrev_b32_e32 v5, 16, v5
	s_or_b32 s0, s1, s0
	v_lshlrev_b32_e32 v0, v25, v22
	v_add_co_ci_u32_e64 v3, s0, 0, v3, s0
	v_cmp_ne_u32_e64 s0, 0, v20
	v_cndmask_b32_e64 v4, 0, 1, s0
	v_cmp_ne_u32_e64 s0, v0, v23
	v_lshl_or_b32 v23, v4, 9, 0x7c00
	v_cndmask_b32_e64 v0, 0, 1, s0
	v_cmp_gt_i32_e64 s0, 31, v21
	v_or_b32_e32 v0, v22, v0
	v_cndmask_b32_e64 v20, 0x7c00, v3, s0
	v_cmp_eq_u32_e64 s0, 0x40f, v21
	ds_read2_b32 v[3:4], v10 offset0:152 offset1:215
	v_lshl_or_b32 v22, v18, 12, v19
	v_and_or_b32 v21, 0x1ff, v12, v11
	v_mul_f64 v[10:11], v[16:17], s[4:5]
	v_cndmask_b32_e64 v20, v20, v23, s0
	v_cmp_gt_i32_e64 s0, 1, v18
	v_lshrrev_b32_e32 v17, 8, v12
	v_and_or_b32 v20, 0x8000, v15, v20
	v_cndmask_b32_e64 v0, v22, v0, s0
	v_cmp_ne_u32_e64 s0, 0, v21
	v_bfe_u32 v22, v12, 20, 11
	v_lshrrev_b32_e32 v12, 16, v12
	v_and_b32_e32 v21, 7, v0
	v_cndmask_b32_e64 v16, 0, 1, s0
	v_sub_nc_u32_e32 v15, 0x3f1, v22
	v_lshrrev_b32_e32 v0, 2, v0
	v_add_nc_u32_e32 v22, 0xfffffc10, v22
	v_cmp_lt_i32_e64 s0, 5, v21
	v_cmp_eq_u32_e64 s1, 3, v21
	v_and_or_b32 v23, 0xffe, v17, v16
	s_waitcnt lgkmcnt(0)
	v_lshrrev_b32_e32 v21, 16, v3
	v_med3_i32 v15, v15, 0, 13
	v_and_or_b32 v10, 0x1ff, v11, v10
	s_or_b32 s0, s1, s0
	v_or_b32_e32 v17, 0x1000, v23
	v_add_co_ci_u32_e64 v0, s0, 0, v0, s0
	v_mul_f16_sdwa v16, v129, v21 dst_sel:DWORD dst_unused:UNUSED_PAD src0_sel:WORD_1 src1_sel:DWORD
	v_cmp_ne_u32_e64 s0, 0, v19
	v_lshrrev_b32_e32 v24, v15, v17
	v_lshrrev_b32_e32 v26, 8, v11
	v_bfe_u32 v27, v11, 20, 11
	v_fmac_f16_e32 v16, v129, v3
	v_cndmask_b32_e64 v19, 0, 1, s0
	v_cmp_gt_i32_e64 s0, 31, v18
	v_lshlrev_b32_e32 v25, v15, v24
	v_mul_f16_sdwa v3, v129, v3 dst_sel:DWORD dst_unused:UNUSED_PAD src0_sel:WORD_1 src1_sel:DWORD
	v_cvt_f32_f16_e32 v15, v16
	v_lshl_or_b32 v19, v19, 9, 0x7c00
	v_cndmask_b32_e64 v0, 0x7c00, v0, s0
	v_cmp_ne_u32_e64 s0, 0, v10
	v_fma_f16 v3, v129, v21, -v3
	v_cvt_f64_f32_e32 v[15:16], v15
	v_lshrrev_b32_e32 v11, 16, v11
	v_cndmask_b32_e64 v10, 0, 1, s0
	v_cmp_ne_u32_e64 s0, v25, v17
	v_sub_nc_u32_e32 v25, 0x3f1, v27
	v_cvt_f32_f16_e32 v3, v3
	v_and_or_b32 v10, 0xffe, v26, v10
	v_cndmask_b32_e64 v17, 0, 1, s0
	v_cmp_eq_u32_e64 s0, 0x40f, v18
	v_lshl_or_b32 v18, v22, 12, v23
	v_or_b32_e32 v17, v24, v17
	v_cndmask_b32_e64 v0, v0, v19, s0
	v_cmp_gt_i32_e64 s0, 1, v22
	v_or_b32_e32 v19, 0x1000, v10
	v_med3_i32 v24, v25, 0, 13
	v_and_or_b32 v0, 0x8000, v5, v0
	v_cndmask_b32_e64 v25, v18, v17, s0
	v_mul_f64 v[15:16], v[15:16], s[4:5]
	v_lshrrev_b32_e32 v26, v24, v19
	v_and_b32_e32 v5, 0xffff, v20
	v_and_b32_e32 v17, 7, v25
	v_lshlrev_b32_e32 v20, v24, v26
	v_lshl_or_b32 v0, v0, 16, v5
	v_add_nc_u32_e32 v5, 0xfffffc10, v27
	v_cmp_lt_i32_e64 s0, 5, v17
	v_cmp_eq_u32_e64 s1, 3, v17
	v_cvt_f64_f32_e32 v[17:18], v3
	v_cmp_ne_u32_e64 s2, v20, v19
	v_lshrrev_b32_e32 v19, 2, v25
	v_lshl_or_b32 v20, v5, 12, v10
	s_or_b32 s0, s1, s0
	v_cndmask_b32_e64 v3, 0, 1, s2
	v_add_co_ci_u32_e64 v19, s0, 0, v19, s0
	v_cmp_ne_u32_e64 s0, 0, v23
	v_add_co_u32 v13, s2, v13, s8
	v_or_b32_e32 v3, v26, v3
	v_and_or_b32 v15, 0x1ff, v16, v15
	v_cndmask_b32_e64 v21, 0, 1, s0
	v_cmp_gt_i32_e64 s0, 1, v5
	v_lshrrev_b32_e32 v23, 8, v16
	v_bfe_u32 v24, v16, 20, 11
	v_add_co_ci_u32_e64 v14, s2, s9, v14, s2
	v_cndmask_b32_e64 v3, v20, v3, s0
	v_cmp_gt_i32_e64 s0, 31, v22
	v_mul_f64 v[17:18], v[17:18], s[4:5]
	v_lshl_or_b32 v20, v21, 9, 0x7c00
	global_store_dword v[13:14], v0, off
	v_and_b32_e32 v21, 7, v3
	v_cndmask_b32_e64 v19, 0x7c00, v19, s0
	v_cmp_ne_u32_e64 s0, 0, v15
	v_lshrrev_b32_e32 v3, 2, v3
	v_cmp_eq_u32_e64 s1, 3, v21
	v_cndmask_b32_e64 v15, 0, 1, s0
	v_cmp_eq_u32_e64 s0, 0x40f, v22
	v_and_or_b32 v15, 0xffe, v23, v15
	v_cndmask_b32_e64 v22, v19, v20, s0
	v_cmp_lt_i32_e64 s0, 5, v21
	v_sub_nc_u32_e32 v19, 0x3f1, v24
	v_lshrrev_b32_e32 v21, 16, v2
	v_or_b32_e32 v20, 0x1000, v15
	v_add_nc_u32_e32 v24, 0xfffffc10, v24
	s_or_b32 s0, s1, s0
	v_med3_i32 v19, v19, 0, 13
	v_add_co_ci_u32_e64 v3, s0, 0, v3, s0
	v_cmp_ne_u32_e64 s0, 0, v10
	v_and_or_b32 v17, 0x1ff, v18, v17
	v_lshrrev_b32_e32 v23, v19, v20
	v_mul_f16_sdwa v25, v128, v21 dst_sel:DWORD dst_unused:UNUSED_PAD src0_sel:WORD_1 src1_sel:DWORD
	v_lshrrev_b32_e32 v26, 8, v18
	v_cndmask_b32_e64 v10, 0, 1, s0
	v_cmp_gt_i32_e64 s0, 31, v5
	v_lshlrev_b32_e32 v19, v19, v23
	v_fmac_f16_e32 v25, v128, v2
	v_bfe_u32 v27, v18, 20, 11
	v_lshl_or_b32 v10, v10, 9, 0x7c00
	v_cndmask_b32_e64 v3, 0x7c00, v3, s0
	v_cmp_ne_u32_e64 s0, 0, v17
	v_and_or_b32 v12, 0x8000, v12, v22
	v_mul_f16_sdwa v2, v128, v2 dst_sel:DWORD dst_unused:UNUSED_PAD src0_sel:WORD_1 src1_sel:DWORD
	v_cndmask_b32_e64 v17, 0, 1, s0
	v_cmp_ne_u32_e64 s0, v19, v20
	v_cvt_f32_f16_e32 v20, v25
	v_sub_nc_u32_e32 v25, 0x3f1, v27
	v_fma_f16 v2, v128, v21, -v2
	v_and_or_b32 v17, 0xffe, v26, v17
	v_cndmask_b32_e64 v19, 0, 1, s0
	v_cmp_eq_u32_e64 s0, 0x40f, v5
	v_med3_i32 v25, v25, 0, 13
	v_lshl_or_b32 v26, v24, 12, v15
	v_or_b32_e32 v28, 0x1000, v17
	v_or_b32_e32 v23, v23, v19
	v_cndmask_b32_e64 v3, v3, v10, s0
	v_cmp_gt_i32_e64 s0, 1, v24
	v_cvt_f64_f32_e32 v[19:20], v20
	v_lshrrev_b32_e32 v10, v25, v28
	v_add_nc_u32_e32 v21, 0xfffffc10, v27
	v_and_b32_e32 v12, 0xffff, v12
	v_cndmask_b32_e64 v5, v26, v23, s0
	v_lshlrev_b32_e32 v23, v25, v10
	v_and_or_b32 v25, 0x8000, v11, v3
	v_and_b32_e32 v22, 7, v5
	v_lshrrev_b32_e32 v5, 2, v5
	v_cmp_ne_u32_e64 s1, v23, v28
	v_cvt_f32_f16_e32 v23, v2
	v_lshl_or_b32 v0, v25, 16, v12
	v_cmp_lt_i32_e64 s0, 5, v22
	v_cndmask_b32_e64 v11, 0, 1, s1
	v_cmp_eq_u32_e64 s1, 3, v22
	v_lshrrev_b32_e32 v22, 16, v1
	s_or_b32 s0, s1, s0
	v_mul_f64 v[2:3], v[19:20], s[4:5]
	v_add_co_ci_u32_e64 v5, s0, 0, v5, s0
	v_cmp_ne_u32_e64 s0, 0, v15
	v_or_b32_e32 v19, v10, v11
	v_cvt_f64_f32_e32 v[10:11], v23
	v_lshl_or_b32 v20, v21, 12, v17
	v_cndmask_b32_e64 v15, 0, 1, s0
	v_cmp_gt_i32_e64 s0, 1, v21
	v_lshl_or_b32 v15, v15, 9, 0x7c00
	v_cndmask_b32_e64 v19, v20, v19, s0
	v_cmp_gt_i32_e64 s0, 31, v24
	v_and_b32_e32 v12, 7, v19
	v_cndmask_b32_e64 v5, 0x7c00, v5, s0
	v_cmp_eq_u32_e64 s0, 0x40f, v24
	v_and_or_b32 v2, 0x1ff, v3, v2
	v_cmp_eq_u32_e64 s1, 3, v12
	v_cndmask_b32_e64 v5, v5, v15, s0
	v_cmp_lt_i32_e64 s0, 5, v12
	v_lshrrev_b32_e32 v12, 2, v19
	v_mul_f64 v[10:11], v[10:11], s[4:5]
	v_cmp_ne_u32_e64 s2, 0, v2
	v_lshrrev_b32_e32 v15, 16, v16
	s_or_b32 s0, s1, s0
	v_lshrrev_b32_e32 v16, 8, v3
	v_add_co_ci_u32_e64 v12, s0, 0, v12, s0
	v_cmp_ne_u32_e64 s0, 0, v17
	v_cndmask_b32_e64 v2, 0, 1, s2
	v_bfe_u32 v19, v3, 20, 11
	v_and_or_b32 v5, 0x8000, v15, v5
	v_cndmask_b32_e64 v17, 0, 1, s0
	v_cmp_gt_i32_e64 s0, 31, v21
	v_and_or_b32 v2, 0xffe, v16, v2
	v_sub_nc_u32_e32 v16, 0x3f1, v19
	v_add_nc_u32_e32 v19, 0xfffffc10, v19
	v_lshl_or_b32 v17, v17, 9, 0x7c00
	v_cndmask_b32_e64 v12, 0x7c00, v12, s0
	v_cmp_eq_u32_e64 s0, 0x40f, v21
	v_or_b32_e32 v20, 0x1000, v2
	v_med3_i32 v16, v16, 0, 13
	v_and_or_b32 v10, 0x1ff, v11, v10
	v_lshrrev_b32_e32 v23, 8, v11
	v_cndmask_b32_e64 v12, v12, v17, s0
	v_lshrrev_b32_e32 v17, 16, v18
	v_mul_f16_sdwa v18, v127, v22 dst_sel:DWORD dst_unused:UNUSED_PAD src0_sel:WORD_1 src1_sel:DWORD
	v_lshrrev_b32_e32 v21, v16, v20
	v_cmp_ne_u32_e64 s0, 0, v10
	v_bfe_u32 v24, v11, 20, 11
	v_and_or_b32 v17, 0x8000, v17, v12
	v_fmac_f16_e32 v18, v127, v1
	v_lshlrev_b32_e32 v12, v16, v21
	v_cndmask_b32_e64 v10, 0, 1, s0
	v_and_b32_e32 v5, 0xffff, v5
	v_mul_f16_sdwa v1, v127, v1 dst_sel:DWORD dst_unused:UNUSED_PAD src0_sel:WORD_1 src1_sel:DWORD
	v_cvt_f32_f16_e32 v15, v18
	v_cmp_ne_u32_e64 s0, v12, v20
	v_and_or_b32 v10, 0xffe, v23, v10
	v_sub_nc_u32_e32 v18, 0x3f1, v24
	v_lshl_or_b32 v5, v17, 16, v5
	v_cvt_f64_f32_e32 v[15:16], v15
	v_cndmask_b32_e64 v12, 0, 1, s0
	v_or_b32_e32 v23, 0x1000, v10
	v_med3_i32 v25, v18, 0, 13
	v_or_b32_e32 v20, v21, v12
	v_add_co_u32 v12, s0, v13, s6
	v_add_co_ci_u32_e64 v13, s0, s7, v14, s0
	v_lshl_or_b32 v21, v19, 12, v2
	v_cmp_gt_i32_e64 s0, 1, v19
	v_cndmask_b32_e64 v20, v21, v20, s0
	v_lshrrev_b32_e32 v21, v25, v23
	v_add_co_u32 v17, s0, v12, s6
	v_add_co_ci_u32_e64 v18, s0, s7, v13, s0
	v_mul_f64 v[14:15], v[15:16], s[4:5]
	v_lshlrev_b32_e32 v16, v25, v21
	v_and_b32_e32 v26, 7, v20
	global_store_dword v[12:13], v0, off
	global_store_dword v[17:18], v5, off
	v_fma_f16 v0, v127, v22, -v1
	v_lshrrev_b32_e32 v12, 2, v20
	v_cmp_ne_u32_e64 s1, v16, v23
	v_cmp_lt_i32_e64 s0, 5, v26
	v_add_nc_u32_e32 v5, 0xfffffc10, v24
	v_cvt_f32_f16_e32 v0, v0
	v_lshrrev_b32_e32 v22, 16, v4
	v_cndmask_b32_e64 v1, 0, 1, s1
	v_cmp_eq_u32_e64 s1, 3, v26
	v_lshl_or_b32 v16, v5, 12, v10
	v_or_b32_e32 v13, v21, v1
	s_or_b32 s0, s1, s0
	v_cvt_f64_f32_e32 v[0:1], v0
	v_add_co_ci_u32_e64 v12, s0, 0, v12, s0
	v_cmp_ne_u32_e64 s0, 0, v2
	v_and_or_b32 v14, 0x1ff, v15, v14
	v_lshrrev_b32_e32 v20, 8, v15
	v_bfe_u32 v21, v15, 20, 11
	v_cndmask_b32_e64 v2, 0, 1, s0
	v_cmp_gt_i32_e64 s0, 1, v5
	v_lshl_or_b32 v2, v2, 9, 0x7c00
	v_cndmask_b32_e64 v13, v16, v13, s0
	v_cmp_gt_i32_e64 s0, 31, v19
	v_and_b32_e32 v16, 7, v13
	v_cndmask_b32_e64 v12, 0x7c00, v12, s0
	v_cmp_ne_u32_e64 s0, 0, v14
	v_cmp_eq_u32_e64 s1, 3, v16
	v_cndmask_b32_e64 v14, 0, 1, s0
	v_cmp_eq_u32_e64 s0, 0x40f, v19
	v_lshrrev_b32_e32 v19, 16, v3
	v_and_or_b32 v14, 0xffe, v20, v14
	v_cndmask_b32_e64 v12, v12, v2, s0
	v_cmp_lt_i32_e64 s0, 5, v16
	v_mul_f64 v[2:3], v[0:1], s[4:5]
	v_lshrrev_b32_e32 v0, 2, v13
	v_sub_nc_u32_e32 v20, 0x3f1, v21
	v_or_b32_e32 v13, 0x1000, v14
	s_or_b32 s0, s1, s0
	v_mul_f16_sdwa v16, v126, v22 dst_sel:DWORD dst_unused:UNUSED_PAD src0_sel:WORD_1 src1_sel:DWORD
	v_add_co_ci_u32_e64 v0, s0, 0, v0, s0
	v_med3_i32 v1, v20, 0, 13
	v_cmp_ne_u32_e64 s0, 0, v10
	v_fmac_f16_e32 v16, v126, v4
	v_and_or_b32 v12, 0x8000, v19, v12
	v_lshrrev_b32_e32 v20, v1, v13
	v_cndmask_b32_e64 v10, 0, 1, s0
	v_cmp_gt_i32_e64 s0, 31, v5
	v_cvt_f32_f16_e32 v16, v16
	v_and_b32_e32 v12, 0xffff, v12
	v_lshlrev_b32_e32 v19, v1, v20
	v_lshl_or_b32 v10, v10, 9, 0x7c00
	v_cndmask_b32_e64 v0, 0x7c00, v0, s0
	v_cmp_eq_u32_e64 s0, 0x40f, v5
	v_and_or_b32 v2, 0x1ff, v3, v2
	v_cndmask_b32_e64 v5, v0, v10, s0
	v_cmp_ne_u32_e64 s0, v19, v13
	v_cvt_f64_f32_e32 v[0:1], v16
	v_lshrrev_b32_e32 v10, 16, v11
	v_lshrrev_b32_e32 v13, 8, v3
	v_bfe_u32 v19, v3, 20, 11
	v_cndmask_b32_e64 v11, 0, 1, s0
	v_cmp_ne_u32_e64 s0, 0, v2
	v_add_nc_u32_e32 v16, 0xfffffc10, v21
	v_and_or_b32 v5, 0x8000, v10, v5
	v_lshrrev_b32_e32 v3, 16, v3
	v_or_b32_e32 v10, v20, v11
	v_cndmask_b32_e64 v2, 0, 1, s0
	v_lshl_or_b32 v11, v16, 12, v14
	v_cmp_gt_i32_e64 s0, 1, v16
	v_lshl_or_b32 v23, v5, 16, v12
	v_and_or_b32 v20, 0xffe, v13, v2
	v_sub_nc_u32_e32 v2, 0x3f1, v19
	v_cndmask_b32_e64 v13, v11, v10, s0
	v_mul_f16_sdwa v10, v126, v4 dst_sel:DWORD dst_unused:UNUSED_PAD src0_sel:WORD_1 src1_sel:DWORD
	v_or_b32_e32 v21, 0x1000, v20
	v_med3_i32 v2, v2, 0, 13
	v_mul_f64 v[4:5], v[0:1], s[4:5]
	v_and_b32_e32 v0, 7, v13
	v_fma_f16 v12, v126, v22, -v10
	v_add_co_u32 v10, s0, v17, s8
	v_lshrrev_b32_e32 v1, v2, v21
	v_add_co_ci_u32_e64 v11, s0, s9, v18, s0
	v_cmp_lt_i32_e64 s0, 5, v0
	v_cmp_eq_u32_e64 s1, 3, v0
	v_lshlrev_b32_e32 v2, v2, v1
	v_cvt_f32_f16_e32 v0, v12
	v_lshrrev_b32_e32 v17, 2, v13
	v_add_nc_u32_e32 v18, 0xfffffc10, v19
	s_or_b32 s0, s1, s0
	v_cmp_ne_u32_e64 s2, v2, v21
	v_cvt_f64_f32_e32 v[12:13], v0
	v_add_co_ci_u32_e64 v0, s0, 0, v17, s0
	v_cmp_ne_u32_e64 s0, 0, v14
	v_cndmask_b32_e64 v2, 0, 1, s2
	global_store_dword v[10:11], v23, off
	v_and_or_b32 v4, 0x1ff, v5, v4
	v_bfe_u32 v19, v5, 20, 11
	v_cndmask_b32_e64 v14, 0, 1, s0
	v_or_b32_e32 v1, v1, v2
	v_lshl_or_b32 v2, v18, 12, v20
	v_cmp_gt_i32_e64 s0, 1, v18
	v_lshl_or_b32 v14, v14, 9, 0x7c00
	v_cndmask_b32_e64 v17, v2, v1, s0
	v_cmp_ne_u32_e64 s0, 0, v4
	ds_read2_b32 v[1:2], v9 offset0:124 offset1:187
	v_lshrrev_b32_e32 v9, 8, v5
	v_lshrrev_b32_e32 v5, 16, v5
	v_and_b32_e32 v21, 7, v17
	v_cndmask_b32_e64 v4, 0, 1, s0
	v_cmp_gt_i32_e64 s0, 31, v16
	v_mul_f64 v[12:13], v[12:13], s[4:5]
	v_cmp_eq_u32_e64 s1, 3, v21
	v_and_or_b32 v22, 0xffe, v9, v4
	v_cndmask_b32_e64 v0, 0x7c00, v0, s0
	v_cmp_eq_u32_e64 s0, 0x40f, v16
	v_lshrrev_b32_e32 v9, 16, v15
	v_sub_nc_u32_e32 v4, 0x3f1, v19
	v_add_nc_u32_e32 v19, 0xfffffc10, v19
	v_cndmask_b32_e64 v0, v0, v14, s0
	v_cmp_lt_i32_e64 s0, 5, v21
	v_or_b32_e32 v14, 0x1000, v22
	v_med3_i32 v4, v4, 0, 13
	v_and_or_b32 v0, 0x8000, v9, v0
	v_lshrrev_b32_e32 v9, 2, v17
	s_waitcnt lgkmcnt(0)
	v_lshrrev_b32_e32 v17, 16, v1
	s_or_b32 s0, s1, s0
	v_lshrrev_b32_e32 v16, v4, v14
	v_and_b32_e32 v0, 0xffff, v0
	v_add_co_ci_u32_e64 v9, s0, 0, v9, s0
	v_cmp_ne_u32_e64 s0, 0, v20
	v_mul_f16_sdwa v20, v125, v17 dst_sel:DWORD dst_unused:UNUSED_PAD src0_sel:WORD_1 src1_sel:DWORD
	v_lshlrev_b32_e32 v4, v4, v16
	v_and_or_b32 v12, 0x1ff, v13, v12
	v_bfe_u32 v24, v13, 20, 11
	v_cndmask_b32_e64 v15, 0, 1, s0
	v_cmp_gt_i32_e64 s0, 31, v18
	v_fmac_f16_e32 v20, v125, v1
	v_mul_f16_sdwa v1, v125, v1 dst_sel:DWORD dst_unused:UNUSED_PAD src0_sel:WORD_1 src1_sel:DWORD
	v_lshl_or_b32 v21, v15, 9, 0x7c00
	v_cndmask_b32_e64 v9, 0x7c00, v9, s0
	v_cmp_ne_u32_e64 s0, v4, v14
	v_cvt_f32_f16_e32 v14, v20
	v_lshrrev_b32_e32 v20, 8, v13
	v_fma_f16 v1, v125, v17, -v1
	v_lshrrev_b32_e32 v13, 16, v13
	v_cndmask_b32_e64 v4, 0, 1, s0
	v_cmp_ne_u32_e64 s0, 0, v12
	v_cvt_f64_f32_e32 v[14:15], v14
	v_cvt_f32_f16_e32 v1, v1
	v_or_b32_e32 v4, v16, v4
	v_cndmask_b32_e64 v12, 0, 1, s0
	v_cmp_eq_u32_e64 s0, 0x40f, v18
	v_lshl_or_b32 v16, v19, 12, v22
	v_and_or_b32 v18, 0xffe, v20, v12
	v_sub_nc_u32_e32 v12, 0x3f1, v24
	v_cndmask_b32_e64 v9, v9, v21, s0
	v_cmp_gt_i32_e64 s0, 1, v19
	v_or_b32_e32 v20, 0x1000, v18
	v_med3_i32 v12, v12, 0, 13
	v_and_or_b32 v3, 0x8000, v3, v9
	v_cndmask_b32_e64 v16, v16, v4, s0
	v_lshrrev_b32_e32 v21, v12, v20
	v_lshl_or_b32 v17, v3, 16, v0
	v_and_b32_e32 v4, 7, v16
	v_mul_f64 v[14:15], v[14:15], s[4:5]
	v_lshlrev_b32_e32 v0, v12, v21
	v_cmp_lt_i32_e64 s0, 5, v4
	v_cmp_eq_u32_e64 s1, 3, v4
	v_cvt_f64_f32_e32 v[3:4], v1
	v_lshrrev_b32_e32 v1, 2, v16
	v_cmp_ne_u32_e64 s2, v0, v20
	v_add_nc_u32_e32 v20, 0xfffffc10, v24
	s_or_b32 s0, s1, s0
	v_add_co_ci_u32_e64 v1, s0, 0, v1, s0
	v_cndmask_b32_e64 v0, 0, 1, s2
	v_cmp_ne_u32_e64 s0, 0, v22
	v_add_co_u32 v9, s2, v10, s6
	v_add_co_ci_u32_e64 v10, s2, s7, v11, s2
	v_or_b32_e32 v0, v21, v0
	v_lshl_or_b32 v11, v20, 12, v18
	v_cndmask_b32_e64 v12, 0, 1, s0
	v_cmp_gt_i32_e64 s0, 1, v20
	v_and_or_b32 v14, 0x1ff, v15, v14
	global_store_dword v[9:10], v17, off
	v_lshl_or_b32 v22, v12, 9, 0x7c00
	v_cndmask_b32_e64 v16, v11, v0, s0
	v_cmp_gt_i32_e64 s0, 31, v19
	v_mul_f64 v[11:12], v[3:4], s[4:5]
	v_lshrrev_b32_e32 v4, 8, v15
	v_and_b32_e32 v23, 7, v16
	v_cndmask_b32_e64 v21, 0x7c00, v1, s0
	v_cmp_ne_u32_e64 s0, 0, v14
	ds_read2_b32 v[0:1], v7 offset0:9 offset1:72
	v_bfe_u32 v14, v15, 20, 11
	v_cmp_eq_u32_e64 s1, 3, v23
	v_lshrrev_b32_e32 v15, 16, v15
	v_cndmask_b32_e64 v3, 0, 1, s0
	v_cmp_eq_u32_e64 s0, 0x40f, v19
	v_add_nc_u32_e32 v27, 0xfffffc10, v14
	v_cndmask_b32_e64 v19, v21, v22, s0
	v_cmp_lt_i32_e64 s0, 5, v23
	v_and_or_b32 v21, 0xffe, v4, v3
	v_lshrrev_b32_e32 v4, 2, v16
	v_sub_nc_u32_e32 v3, 0x3f1, v14
	v_and_or_b32 v5, 0x8000, v5, v19
	s_or_b32 s0, s1, s0
	v_or_b32_e32 v16, 0x1000, v21
	v_add_co_ci_u32_e64 v4, s0, 0, v4, s0
	v_cmp_ne_u32_e64 s0, 0, v18
	v_med3_i32 v3, v3, 0, 13
	s_waitcnt lgkmcnt(0)
	v_lshrrev_b32_e32 v22, 16, v0
	v_and_or_b32 v11, 0x1ff, v12, v11
	v_bfe_u32 v26, v12, 20, 11
	v_cndmask_b32_e64 v18, 0, 1, s0
	v_cmp_gt_i32_e64 s0, 31, v20
	v_lshrrev_b32_e32 v23, v3, v16
	v_mul_f16_sdwa v24, v124, v22 dst_sel:DWORD dst_unused:UNUSED_PAD src0_sel:WORD_1 src1_sel:DWORD
	v_sub_nc_u32_e32 v14, 0x3f1, v26
	v_lshl_or_b32 v18, v18, 9, 0x7c00
	v_cndmask_b32_e64 v25, 0x7c00, v4, s0
	v_cmp_ne_u32_e64 s0, 0, v11
	v_lshlrev_b32_e32 v3, v3, v23
	v_fmac_f16_e32 v24, v124, v0
	v_lshrrev_b32_e32 v11, 8, v12
	v_med3_i32 v14, v14, 0, 13
	v_cndmask_b32_e64 v4, 0, 1, s0
	v_cmp_ne_u32_e64 s0, v3, v16
	v_cvt_f32_f16_e32 v24, v24
	v_mul_f16_sdwa v0, v124, v0 dst_sel:DWORD dst_unused:UNUSED_PAD src0_sel:WORD_1 src1_sel:DWORD
	v_and_or_b32 v11, 0xffe, v11, v4
	v_cndmask_b32_e64 v16, 0, 1, s0
	v_cvt_f64_f32_e32 v[3:4], v24
	v_cmp_eq_u32_e64 s0, 0x40f, v20
	v_fma_f16 v0, v124, v22, -v0
	v_or_b32_e32 v24, 0x1000, v11
	v_or_b32_e32 v16, v23, v16
	v_lshl_or_b32 v23, v27, 12, v21
	v_cndmask_b32_e64 v18, v25, v18, s0
	v_cmp_gt_i32_e64 s0, 1, v27
	v_lshrrev_b32_e32 v20, v14, v24
	v_and_b32_e32 v22, 0xffff, v5
	v_cvt_f32_f16_e32 v0, v0
	v_and_or_b32 v18, 0x8000, v13, v18
	v_cndmask_b32_e64 v16, v23, v16, s0
	v_lshlrev_b32_e32 v14, v14, v20
	v_and_b32_e32 v19, 7, v16
	v_cmp_ne_u32_e64 s1, v14, v24
	v_add_nc_u32_e32 v24, 0xfffffc10, v26
	v_cvt_f64_f32_e32 v[13:14], v0
	v_cmp_lt_i32_e64 s0, 5, v19
	v_cndmask_b32_e64 v23, 0, 1, s1
	v_cmp_eq_u32_e64 s1, 3, v19
	v_mul_f64 v[4:5], v[3:4], s[4:5]
	v_lshrrev_b32_e32 v3, 2, v16
	v_lshl_or_b32 v16, v24, 12, v11
	v_or_b32_e32 v0, v20, v23
	s_or_b32 s0, s1, s0
	v_add_co_ci_u32_e64 v3, s0, 0, v3, s0
	v_cmp_ne_u32_e64 s0, 0, v21
	v_cndmask_b32_e64 v19, 0, 1, s0
	v_cmp_gt_i32_e64 s0, 1, v24
	v_mul_f64 v[13:14], v[13:14], s[4:5]
	v_cndmask_b32_e64 v0, v16, v0, s0
	v_cmp_gt_i32_e64 s0, 31, v27
	v_lshl_or_b32 v16, v19, 9, 0x7c00
	v_lshl_or_b32 v19, v18, 16, v22
	v_lshrrev_b32_e32 v18, 8, v5
	v_and_b32_e32 v17, 7, v0
	v_cndmask_b32_e64 v3, 0x7c00, v3, s0
	v_cmp_eq_u32_e64 s0, 0x40f, v27
	v_lshrrev_b32_e32 v0, 2, v0
	v_bfe_u32 v20, v5, 20, 11
	v_cmp_eq_u32_e64 s1, 3, v17
	v_cndmask_b32_e64 v16, v3, v16, s0
	v_and_or_b32 v3, 0x1ff, v5, v4
	v_cmp_lt_i32_e64 s0, 5, v17
	v_lshrrev_b32_e32 v5, 16, v5
	v_and_or_b32 v15, 0x8000, v15, v16
	v_cmp_ne_u32_e64 s2, 0, v3
	s_or_b32 s0, s1, s0
	ds_read2_b32 v[3:4], v6 offset0:22 offset1:85
	v_add_co_ci_u32_e64 v0, s0, 0, v0, s0
	v_cndmask_b32_e64 v17, 0, 1, s2
	v_cmp_ne_u32_e64 s0, 0, v11
	v_and_or_b32 v13, 0x1ff, v14, v13
	v_bfe_u32 v23, v14, 20, 11
	v_and_b32_e32 v15, 0xffff, v15
	v_and_or_b32 v21, 0xffe, v18, v17
	v_cndmask_b32_e64 v11, 0, 1, s0
	v_sub_nc_u32_e32 v17, 0x3f1, v20
	v_cmp_gt_i32_e64 s0, 31, v24
	v_add_nc_u32_e32 v20, 0xfffffc10, v20
	v_or_b32_e32 v18, 0x1000, v21
	v_lshl_or_b32 v11, v11, 9, 0x7c00
	v_med3_i32 v17, v17, 0, 13
	v_cndmask_b32_e64 v0, 0x7c00, v0, s0
	v_cmp_eq_u32_e64 s0, 0x40f, v24
	s_waitcnt lgkmcnt(0)
	v_lshrrev_b32_e32 v22, 16, v3
	v_cndmask_b32_e64 v0, v0, v11, s0
	v_lshrrev_b32_e32 v11, 16, v12
	v_lshrrev_b32_e32 v12, v17, v18
	v_cmp_ne_u32_e64 s0, 0, v13
	v_mul_f16_sdwa v16, v123, v22 dst_sel:DWORD dst_unused:UNUSED_PAD src0_sel:WORD_1 src1_sel:DWORD
	v_and_or_b32 v0, 0x8000, v11, v0
	v_lshlrev_b32_e32 v11, v17, v12
	v_cndmask_b32_e64 v13, 0, 1, s0
	v_lshrrev_b32_e32 v17, 8, v14
	v_fmac_f16_e32 v16, v123, v3
	v_mul_f16_sdwa v3, v123, v3 dst_sel:DWORD dst_unused:UNUSED_PAD src0_sel:WORD_1 src1_sel:DWORD
	v_cmp_ne_u32_e64 s0, v11, v18
	v_lshl_or_b32 v0, v0, 16, v15
	v_and_or_b32 v13, 0xffe, v17, v13
	v_sub_nc_u32_e32 v17, 0x3f1, v23
	v_fma_f16 v3, v123, v22, -v3
	v_cndmask_b32_e64 v11, 0, 1, s0
	v_cmp_gt_i32_e64 s0, 1, v20
	v_or_b32_e32 v24, 0x1000, v13
	v_med3_i32 v17, v17, 0, 13
	v_cvt_f32_f16_e32 v3, v3
	v_or_b32_e32 v18, v12, v11
	v_cvt_f32_f16_e32 v11, v16
	v_lshl_or_b32 v16, v20, 12, v21
	v_lshrrev_b32_e32 v25, v17, v24
	v_add_nc_u32_e32 v22, 0xfffffc10, v23
	v_cvt_f64_f32_e32 v[11:12], v11
	v_cndmask_b32_e64 v18, v16, v18, s0
	v_lshlrev_b32_e32 v17, v17, v25
	v_add_co_u32 v9, s0, v9, s6
	v_add_co_ci_u32_e64 v10, s0, s7, v10, s0
	v_cmp_ne_u32_e64 s1, v17, v24
	v_and_b32_e32 v26, 7, v18
	v_add_co_u32 v15, s0, v9, s8
	v_add_co_ci_u32_e64 v16, s0, s9, v10, s0
	v_cndmask_b32_e64 v17, 0, 1, s1
	v_cmp_lt_i32_e64 s0, 5, v26
	v_cmp_eq_u32_e64 s1, 3, v26
	v_lshrrev_b32_e32 v23, 2, v18
	global_store_dword v[9:10], v19, off
	global_store_dword v[15:16], v0, off
	v_or_b32_e32 v24, v25, v17
	v_cvt_f64_f32_e32 v[17:18], v3
	s_or_b32 s0, s1, s0
	v_lshl_or_b32 v3, v22, 12, v13
	v_mul_f64 v[11:12], v[11:12], s[4:5]
	v_add_co_ci_u32_e64 v23, s0, 0, v23, s0
	v_cmp_ne_u32_e64 s0, 0, v21
	v_cndmask_b32_e64 v21, 0, 1, s0
	v_cmp_gt_i32_e64 s0, 1, v22
	v_lshl_or_b32 v21, v21, 9, 0x7c00
	v_cndmask_b32_e64 v3, v3, v24, s0
	v_cmp_gt_i32_e64 s0, 31, v20
	v_and_b32_e32 v0, 7, v3
	v_cndmask_b32_e64 v23, 0x7c00, v23, s0
	v_cmp_eq_u32_e64 s0, 0x40f, v20
	v_and_or_b32 v11, 0x1ff, v12, v11
	v_mul_f64 v[9:10], v[17:18], s[4:5]
	v_cmp_eq_u32_e64 s1, 3, v0
	v_bfe_u32 v20, v12, 20, 11
	v_cndmask_b32_e64 v19, v23, v21, s0
	v_cmp_ne_u32_e64 s2, 0, v11
	v_cmp_lt_i32_e64 s0, 5, v0
	v_lshrrev_b32_e32 v0, 2, v3
	v_lshrrev_b32_e32 v11, 8, v12
	;; [unrolled: 1-line block ×3, first 2 shown]
	v_cndmask_b32_e64 v3, 0, 1, s2
	s_or_b32 s0, s1, s0
	v_and_or_b32 v5, 0x8000, v5, v19
	v_add_co_ci_u32_e64 v0, s0, 0, v0, s0
	v_and_or_b32 v11, 0xffe, v11, v3
	v_sub_nc_u32_e32 v3, 0x3f1, v20
	v_cmp_ne_u32_e64 s0, 0, v13
	v_mul_f16_sdwa v17, v122, v21 dst_sel:DWORD dst_unused:UNUSED_PAD src0_sel:WORD_1 src1_sel:DWORD
	v_add_nc_u32_e32 v20, 0xfffffc10, v20
	v_or_b32_e32 v23, 0x1000, v11
	v_med3_i32 v3, v3, 0, 13
	v_cndmask_b32_e64 v13, 0, 1, s0
	v_cmp_gt_i32_e64 s0, 31, v22
	v_fmac_f16_e32 v17, v122, v2
	v_and_or_b32 v9, 0x1ff, v10, v9
	v_lshrrev_b32_e32 v24, v3, v23
	v_lshl_or_b32 v13, v13, 9, 0x7c00
	v_cndmask_b32_e64 v0, 0x7c00, v0, s0
	v_cmp_eq_u32_e64 s0, 0x40f, v22
	v_cvt_f32_f16_e32 v17, v17
	v_lshlrev_b32_e32 v3, v3, v24
	v_bfe_u32 v22, v10, 20, 11
	v_mul_f16_sdwa v2, v122, v2 dst_sel:DWORD dst_unused:UNUSED_PAD src0_sel:WORD_1 src1_sel:DWORD
	v_cndmask_b32_e64 v0, v0, v13, s0
	v_cmp_ne_u32_e64 s0, 0, v9
	v_cvt_f64_f32_e32 v[17:18], v17
	v_lshrrev_b32_e32 v13, 8, v10
	v_fma_f16 v19, v122, v21, -v2
	v_and_b32_e32 v5, 0xffff, v5
	v_cndmask_b32_e64 v9, 0, 1, s0
	v_cmp_ne_u32_e64 s0, v3, v23
	v_lshl_or_b32 v23, v20, 12, v11
	v_lshrrev_b32_e32 v10, 16, v10
	v_and_or_b32 v9, 0xffe, v13, v9
	v_cndmask_b32_e64 v3, 0, 1, s0
	v_cmp_gt_i32_e64 s0, 1, v20
	v_lshrrev_b32_e32 v13, 16, v14
	v_sub_nc_u32_e32 v14, 0x3f1, v22
	v_or_b32_e32 v3, v24, v3
	v_or_b32_e32 v24, 0x1000, v9
	v_and_or_b32 v0, 0x8000, v13, v0
	v_med3_i32 v14, v14, 0, 13
	v_cndmask_b32_e64 v23, v23, v3, s0
	v_mul_f64 v[2:3], v[17:18], s[4:5]
	v_lshrrev_b32_e32 v21, v14, v24
	v_cvt_f32_f16_e32 v17, v19
	v_and_b32_e32 v13, 7, v23
	v_add_nc_u32_e32 v19, 0xfffffc10, v22
	v_lshl_or_b32 v5, v0, 16, v5
	v_lshlrev_b32_e32 v18, v14, v21
	v_cmp_lt_i32_e64 s0, 5, v13
	v_cmp_eq_u32_e64 s1, 3, v13
	v_cvt_f64_f32_e32 v[13:14], v17
	v_lshrrev_b32_e32 v17, 2, v23
	v_cmp_ne_u32_e64 s2, v18, v24
	s_or_b32 s0, s1, s0
	v_add_co_ci_u32_e64 v17, s0, 0, v17, s0
	v_cmp_ne_u32_e64 s0, 0, v11
	v_cndmask_b32_e64 v18, 0, 1, s2
	v_and_or_b32 v2, 0x1ff, v3, v2
	v_cndmask_b32_e64 v11, 0, 1, s0
	v_cmp_gt_i32_e64 s0, 31, v20
	v_or_b32_e32 v18, v21, v18
	v_lshl_or_b32 v21, v19, 12, v9
	v_bfe_u32 v22, v3, 20, 11
	v_lshl_or_b32 v11, v11, 9, 0x7c00
	v_cndmask_b32_e64 v17, 0x7c00, v17, s0
	v_cmp_gt_i32_e64 s0, 1, v19
	v_cndmask_b32_e64 v18, v21, v18, s0
	v_cmp_eq_u32_e64 s0, 0x40f, v20
	v_lshrrev_b32_e32 v20, 16, v12
	v_and_b32_e32 v21, 7, v18
	v_cndmask_b32_e64 v17, v17, v11, s0
	v_mul_f64 v[11:12], v[13:14], s[4:5]
	v_cmp_ne_u32_e64 s0, 0, v2
	v_lshrrev_b32_e32 v13, 8, v3
	v_cmp_eq_u32_e64 s1, 3, v21
	v_lshrrev_b32_e32 v14, 2, v18
	v_lshrrev_b32_e32 v18, 16, v1
	v_cndmask_b32_e64 v2, 0, 1, s0
	v_cmp_lt_i32_e64 s0, 5, v21
	v_and_or_b32 v17, 0x8000, v20, v17
	v_lshrrev_b32_e32 v3, 16, v3
	v_mul_f16_sdwa v23, v121, v18 dst_sel:DWORD dst_unused:UNUSED_PAD src0_sel:WORD_1 src1_sel:DWORD
	v_and_or_b32 v2, 0xffe, v13, v2
	s_or_b32 s0, s1, s0
	v_sub_nc_u32_e32 v13, 0x3f1, v22
	v_add_co_ci_u32_e64 v14, s0, 0, v14, s0
	v_cmp_gt_i32_e64 s0, 31, v19
	v_or_b32_e32 v21, 0x1000, v2
	v_med3_i32 v13, v13, 0, 13
	v_fmac_f16_e32 v23, v121, v1
	v_add_nc_u32_e32 v22, 0xfffffc10, v22
	v_cndmask_b32_e64 v20, 0x7c00, v14, s0
	v_and_or_b32 v11, 0x1ff, v12, v11
	v_cmp_ne_u32_e64 s0, 0, v9
	v_lshrrev_b32_e32 v24, v13, v21
	v_bfe_u32 v26, v12, 20, 11
	v_and_b32_e32 v17, 0xffff, v17
	v_mul_f16_sdwa v1, v121, v1 dst_sel:DWORD dst_unused:UNUSED_PAD src0_sel:WORD_1 src1_sel:DWORD
	v_cndmask_b32_e64 v9, 0, 1, s0
	v_cmp_ne_u32_e64 s0, 0, v11
	v_lshlrev_b32_e32 v25, v13, v24
	v_cvt_f32_f16_e32 v13, v23
	v_lshrrev_b32_e32 v23, 8, v12
	v_lshl_or_b32 v9, v9, 9, 0x7c00
	v_cndmask_b32_e64 v11, 0, 1, s0
	v_cmp_ne_u32_e64 s0, v25, v21
	v_cvt_f64_f32_e32 v[13:14], v13
	v_and_or_b32 v11, 0xffe, v23, v11
	v_sub_nc_u32_e32 v23, 0x3f1, v26
	v_cndmask_b32_e64 v21, 0, 1, s0
	v_cmp_eq_u32_e64 s0, 0x40f, v19
	v_or_b32_e32 v25, 0x1000, v11
	v_med3_i32 v23, v23, 0, 13
	v_or_b32_e32 v21, v24, v21
	v_lshl_or_b32 v24, v22, 12, v2
	v_cndmask_b32_e64 v9, v20, v9, s0
	v_cmp_gt_i32_e64 s0, 1, v22
	v_lshrrev_b32_e32 v20, v23, v25
	v_and_or_b32 v0, 0x8000, v10, v9
	v_cndmask_b32_e64 v19, v24, v21, s0
	v_lshlrev_b32_e32 v23, v23, v20
	v_mul_f64 v[9:10], v[13:14], s[4:5]
	v_and_b32_e32 v21, 7, v19
	v_cmp_ne_u32_e64 s1, v23, v25
	v_add_co_u32 v13, s0, v15, s6
	v_add_co_ci_u32_e64 v14, s0, s7, v16, s0
	v_lshl_or_b32 v24, v0, 16, v17
	v_fma_f16 v0, v121, v18, -v1
	v_cmp_lt_i32_e64 s0, 5, v21
	v_cndmask_b32_e64 v1, 0, 1, s1
	v_cmp_eq_u32_e64 s1, 3, v21
	v_lshrrev_b32_e32 v15, 2, v19
	v_add_nc_u32_e32 v23, 0xfffffc10, v26
	v_cvt_f32_f16_e32 v0, v0
	v_or_b32_e32 v16, v20, v1
	s_or_b32 s0, s1, s0
	global_store_dword v[13:14], v5, off
	v_add_co_ci_u32_e64 v15, s0, 0, v15, s0
	v_cmp_ne_u32_e64 s0, 0, v2
	v_lshl_or_b32 v17, v23, 12, v11
	v_cvt_f64_f32_e32 v[0:1], v0
	v_and_or_b32 v9, 0x1ff, v10, v9
	v_bfe_u32 v19, v10, 20, 11
	v_cndmask_b32_e64 v2, 0, 1, s0
	v_cmp_gt_i32_e64 s0, 1, v23
	v_sub_nc_u32_e32 v20, 0x3f1, v19
	v_lshl_or_b32 v2, v2, 9, 0x7c00
	v_cndmask_b32_e64 v17, v17, v16, s0
	v_cmp_gt_i32_e64 s0, 31, v22
	v_lshrrev_b32_e32 v16, 8, v10
	v_med3_i32 v20, v20, 0, 13
	v_add_nc_u32_e32 v19, 0xfffffc10, v19
	v_and_b32_e32 v18, 7, v17
	v_cndmask_b32_e64 v15, 0x7c00, v15, s0
	v_cmp_ne_u32_e64 s0, 0, v9
	v_lshrrev_b32_e32 v10, 16, v10
	v_cmp_eq_u32_e64 s1, 3, v18
	v_cndmask_b32_e64 v9, 0, 1, s0
	v_cmp_eq_u32_e64 s0, 0x40f, v22
	v_lshrrev_b32_e32 v22, 16, v4
	v_and_or_b32 v9, 0xffe, v16, v9
	v_cndmask_b32_e64 v2, v15, v2, s0
	v_mul_f64 v[15:16], v[0:1], s[4:5]
	v_cmp_lt_i32_e64 s0, 5, v18
	v_lshrrev_b32_e32 v0, 2, v17
	v_or_b32_e32 v1, 0x1000, v9
	v_and_or_b32 v2, 0x8000, v3, v2
	s_or_b32 s0, s1, s0
	v_lshrrev_b32_e32 v21, v20, v1
	v_add_co_ci_u32_e64 v0, s0, 0, v0, s0
	v_add_co_u32 v17, s0, v13, s6
	v_add_co_ci_u32_e64 v18, s0, s7, v14, s0
	v_lshlrev_b32_e32 v20, v20, v21
	v_cmp_gt_i32_e64 s0, 31, v23
	global_store_dword v[17:18], v24, off
	v_cndmask_b32_e64 v3, 0x7c00, v0, s0
	v_cmp_ne_u32_e64 s0, v20, v1
	v_and_or_b32 v1, 0x1ff, v16, v15
	v_mul_f16_sdwa v15, v120, v22 dst_sel:DWORD dst_unused:UNUSED_PAD src0_sel:WORD_1 src1_sel:DWORD
	v_bfe_u32 v25, v16, 20, 11
	v_lshl_or_b32 v20, v19, 12, v9
	v_cndmask_b32_e64 v0, 0, 1, s0
	v_cmp_ne_u32_e64 s0, 0, v11
	v_fmac_f16_e32 v15, v120, v4
	v_sub_nc_u32_e32 v26, 0x3f1, v25
	v_mul_f16_sdwa v4, v120, v4 dst_sel:DWORD dst_unused:UNUSED_PAD src0_sel:WORD_1 src1_sel:DWORD
	v_or_b32_e32 v0, v21, v0
	v_cndmask_b32_e64 v11, 0, 1, s0
	v_cmp_ne_u32_e64 s0, 0, v1
	v_lshrrev_b32_e32 v21, 8, v16
	v_cvt_f32_f16_e32 v15, v15
	v_med3_i32 v26, v26, 0, 13
	v_lshl_or_b32 v11, v11, 9, 0x7c00
	v_cndmask_b32_e64 v1, 0, 1, s0
	v_cmp_gt_i32_e64 s0, 1, v19
	v_fma_f16 v4, v120, v22, -v4
	v_and_or_b32 v21, 0xffe, v21, v1
	v_cndmask_b32_e64 v20, v20, v0, s0
	v_cvt_f64_f32_e32 v[0:1], v15
	v_cmp_eq_u32_e64 s0, 0x40f, v23
	v_or_b32_e32 v27, 0x1000, v21
	v_and_b32_e32 v15, 7, v20
	v_cndmask_b32_e64 v3, v3, v11, s0
	v_lshrrev_b32_e32 v11, 16, v12
	v_lshrrev_b32_e32 v23, v26, v27
	v_cmp_lt_i32_e64 s0, 5, v15
	v_cmp_eq_u32_e64 s1, 3, v15
	v_cvt_f32_f16_e32 v12, v4
	v_and_or_b32 v15, 0x8000, v11, v3
	v_lshrrev_b32_e32 v3, 2, v20
	v_lshlrev_b32_e32 v11, v26, v23
	s_or_b32 s0, s1, s0
	v_add_co_ci_u32_e64 v20, s0, 0, v3, s0
	v_cmp_ne_u32_e64 s0, v11, v27
	v_cvt_f64_f32_e32 v[11:12], v12
	v_mul_f64 v[3:4], v[0:1], s[4:5]
	v_add_nc_u32_e32 v0, 0xfffffc10, v25
	v_cndmask_b32_e64 v22, 0, 1, s0
	v_cmp_ne_u32_e64 s0, 0, v9
	v_or_b32_e32 v9, v23, v22
	v_cndmask_b32_e64 v1, 0, 1, s0
	v_cmp_gt_i32_e64 s0, 31, v19
	v_lshl_or_b32 v22, v0, 12, v21
	v_and_b32_e32 v23, 0xffff, v2
	v_lshl_or_b32 v1, v1, 9, 0x7c00
	v_cndmask_b32_e64 v20, 0x7c00, v20, s0
	v_cmp_gt_i32_e64 s0, 1, v0
	v_cndmask_b32_e64 v22, v22, v9, s0
	v_cmp_eq_u32_e64 s0, 0x40f, v19
	v_and_or_b32 v3, 0x1ff, v4, v3
	v_lshl_or_b32 v19, v15, 16, v23
	v_and_b32_e32 v5, 7, v22
	v_cndmask_b32_e64 v9, v20, v1, s0
	ds_read2_b32 v[1:2], v8 offset0:122 offset1:185
	v_cmp_ne_u32_e64 s2, 0, v3
	v_cmp_lt_i32_e64 s0, 5, v5
	v_and_or_b32 v13, 0x8000, v10, v9
	v_mul_f64 v[8:9], v[11:12], s[4:5]
	v_cmp_eq_u32_e64 s1, 3, v5
	v_lshrrev_b32_e32 v5, 2, v22
	v_cndmask_b32_e64 v3, 0, 1, s2
	v_lshrrev_b32_e32 v10, 8, v4
	v_bfe_u32 v12, v4, 20, 11
	s_or_b32 s0, s1, s0
	v_add_co_ci_u32_e64 v5, s0, 0, v5, s0
	v_and_or_b32 v3, 0xffe, v10, v3
	v_sub_nc_u32_e32 v10, 0x3f1, v12
	v_cmp_ne_u32_e64 s0, 0, v21
	v_add_nc_u32_e32 v23, 0xfffffc10, v12
	s_waitcnt lgkmcnt(0)
	v_lshrrev_b32_e32 v20, 16, v1
	v_or_b32_e32 v14, 0x1000, v3
	v_cndmask_b32_e64 v11, 0, 1, s0
	v_med3_i32 v10, v10, 0, 13
	v_cmp_gt_i32_e64 s0, 31, v0
	v_mul_f16_sdwa v15, v119, v20 dst_sel:DWORD dst_unused:UNUSED_PAD src0_sel:WORD_1 src1_sel:DWORD
	v_lshl_or_b32 v11, v11, 9, 0x7c00
	v_lshrrev_b32_e32 v21, v10, v14
	v_cndmask_b32_e64 v5, 0x7c00, v5, s0
	v_and_or_b32 v8, 0x1ff, v9, v8
	v_cmp_eq_u32_e64 s0, 0x40f, v0
	v_fmac_f16_e32 v15, v119, v1
	v_bfe_u32 v22, v9, 20, 11
	v_mul_f16_sdwa v1, v119, v1 dst_sel:DWORD dst_unused:UNUSED_PAD src0_sel:WORD_1 src1_sel:DWORD
	v_cndmask_b32_e64 v0, v5, v11, s0
	v_lshlrev_b32_e32 v5, v10, v21
	v_cmp_ne_u32_e64 s0, 0, v8
	v_cvt_f32_f16_e32 v10, v15
	v_lshrrev_b32_e32 v15, 8, v9
	v_sub_nc_u32_e32 v12, 0x3f1, v22
	v_fma_f16 v1, v119, v20, -v1
	v_cndmask_b32_e64 v8, 0, 1, s0
	v_cmp_ne_u32_e64 s0, v5, v14
	v_cvt_f64_f32_e32 v[10:11], v10
	v_lshrrev_b32_e32 v14, 16, v16
	v_add_nc_u32_e32 v20, 0xfffffc10, v22
	v_and_or_b32 v8, 0xffe, v15, v8
	v_cndmask_b32_e64 v5, 0, 1, s0
	v_lshl_or_b32 v15, v23, 12, v3
	v_cmp_gt_i32_e64 s0, 1, v23
	v_and_or_b32 v0, 0x8000, v14, v0
	v_or_b32_e32 v16, 0x1000, v8
	v_or_b32_e32 v5, v21, v5
	v_med3_i32 v21, v12, 0, 13
	v_and_b32_e32 v14, 0xffff, v13
	v_cvt_f32_f16_e32 v1, v1
	v_lshrrev_b32_e32 v9, 16, v9
	v_cndmask_b32_e64 v5, v15, v5, s0
	v_lshrrev_b32_e32 v24, v21, v16
	v_add_co_u32 v12, s0, v17, s8
	v_add_co_ci_u32_e64 v13, s0, s9, v18, s0
	v_lshlrev_b32_e32 v17, v21, v24
	v_lshl_or_b32 v18, v0, 16, v14
	v_and_b32_e32 v0, 7, v5
	v_mul_f64 v[10:11], v[10:11], s[4:5]
	v_add_co_u32 v14, s0, v12, s6
	v_cmp_ne_u32_e64 s1, v17, v16
	v_add_co_ci_u32_e64 v15, s0, s7, v13, s0
	v_cmp_lt_i32_e64 s0, 5, v0
	v_lshl_or_b32 v21, v20, 12, v8
	v_cndmask_b32_e64 v16, 0, 1, s1
	v_cmp_eq_u32_e64 s1, 3, v0
	v_lshrrev_b32_e32 v0, 2, v5
	v_or_b32_e32 v5, v24, v16
	s_or_b32 s0, s1, s0
	v_cvt_f64_f32_e32 v[16:17], v1
	v_add_co_ci_u32_e64 v22, s0, 0, v0, s0
	v_cmp_ne_u32_e64 s0, 0, v3
	ds_read2_b32 v[0:1], v7 offset0:135 offset1:198
	global_store_dword v[12:13], v19, off
	global_store_dword v[14:15], v18, off
	v_bfe_u32 v24, v11, 20, 11
	v_cndmask_b32_e64 v3, 0, 1, s0
	v_cmp_gt_i32_e64 s0, 1, v20
	v_lshl_or_b32 v3, v3, 9, 0x7c00
	v_cndmask_b32_e64 v21, v21, v5, s0
	v_and_or_b32 v5, 0x1ff, v11, v10
	v_cmp_gt_i32_e64 s0, 31, v23
	v_and_b32_e32 v10, 7, v21
	v_cndmask_b32_e64 v7, 0x7c00, v22, s0
	v_cmp_ne_u32_e64 s0, 0, v5
	v_lshrrev_b32_e32 v22, 8, v11
	v_cmp_eq_u32_e64 s1, 3, v10
	v_lshrrev_b32_e32 v11, 16, v11
	v_cndmask_b32_e64 v5, 0, 1, s0
	v_cmp_eq_u32_e64 s0, 0x40f, v23
	v_sub_nc_u32_e32 v23, 0x3f1, v24
	v_and_or_b32 v22, 0xffe, v22, v5
	v_cndmask_b32_e64 v3, v7, v3, s0
	v_cmp_lt_i32_e64 s0, 5, v10
	v_lshrrev_b32_e32 v7, 16, v4
	v_mul_f64 v[4:5], v[16:17], s[4:5]
	v_lshrrev_b32_e32 v10, 2, v21
	v_or_b32_e32 v16, 0x1000, v22
	s_or_b32 s0, s1, s0
	v_med3_i32 v17, v23, 0, 13
	s_waitcnt lgkmcnt(0)
	v_lshrrev_b32_e32 v21, 16, v0
	v_add_co_ci_u32_e64 v10, s0, 0, v10, s0
	v_cmp_ne_u32_e64 s0, 0, v8
	v_lshrrev_b32_e32 v23, v17, v16
	v_mul_f16_sdwa v25, v118, v21 dst_sel:DWORD dst_unused:UNUSED_PAD src0_sel:WORD_1 src1_sel:DWORD
	v_and_or_b32 v7, 0x8000, v7, v3
	v_cndmask_b32_e64 v8, 0, 1, s0
	v_cmp_gt_i32_e64 s0, 31, v20
	v_lshlrev_b32_e32 v3, v17, v23
	v_fmac_f16_e32 v25, v118, v0
	v_add_nc_u32_e32 v17, 0xfffffc10, v24
	v_lshl_or_b32 v8, v8, 9, 0x7c00
	v_cndmask_b32_e64 v10, 0x7c00, v10, s0
	v_cmp_eq_u32_e64 s0, 0x40f, v20
	v_and_b32_e32 v7, 0xffff, v7
	v_and_or_b32 v4, 0x1ff, v5, v4
	v_bfe_u32 v24, v5, 20, 11
	v_mul_f16_sdwa v0, v118, v0 dst_sel:DWORD dst_unused:UNUSED_PAD src0_sel:WORD_1 src1_sel:DWORD
	v_cndmask_b32_e64 v8, v10, v8, s0
	v_cmp_ne_u32_e64 s0, v3, v16
	v_cvt_f32_f16_e32 v10, v25
	v_fma_f16 v0, v118, v21, -v0
	v_and_or_b32 v8, 0x8000, v9, v8
	v_cndmask_b32_e64 v16, 0, 1, s0
	v_cmp_ne_u32_e64 s0, 0, v4
	v_cvt_f64_f32_e32 v[3:4], v10
	v_lshrrev_b32_e32 v10, 8, v5
	v_lshl_or_b32 v18, v8, 16, v7
	v_or_b32_e32 v9, v23, v16
	v_cndmask_b32_e64 v20, 0, 1, s0
	v_lshl_or_b32 v16, v17, 12, v22
	v_cmp_gt_i32_e64 s0, 1, v17
	v_cvt_f32_f16_e32 v0, v0
	v_and_or_b32 v20, 0xffe, v10, v20
	v_sub_nc_u32_e32 v10, 0x3f1, v24
	v_cndmask_b32_e64 v16, v16, v9, s0
	v_add_co_u32 v7, s0, v14, s6
	v_or_b32_e32 v23, 0x1000, v20
	v_med3_i32 v25, v10, 0, 13
	v_and_b32_e32 v12, 7, v16
	v_add_co_ci_u32_e64 v8, s0, s7, v15, s0
	v_add_nc_u32_e32 v14, 0xfffffc10, v24
	v_lshrrev_b32_e32 v13, v25, v23
	v_cmp_lt_i32_e64 s0, 5, v12
	v_mul_f64 v[9:10], v[3:4], s[4:5]
	v_cmp_eq_u32_e64 s1, 3, v12
	v_lshrrev_b32_e32 v4, 2, v16
	v_lshlrev_b32_e32 v3, v25, v13
	v_lshl_or_b32 v19, v14, 12, v20
	global_store_dword v[7:8], v18, off
	s_or_b32 s0, s1, s0
	v_cmp_ne_u32_e64 s2, v3, v23
	v_add_co_ci_u32_e64 v15, s0, 0, v4, s0
	v_cmp_ne_u32_e64 s0, 0, v22
	v_cndmask_b32_e64 v3, 0, 1, s2
	v_or_b32_e32 v16, v13, v3
	v_cvt_f64_f32_e32 v[12:13], v0
	ds_read2_b32 v[3:4], v6 offset0:148 offset1:211
	v_cndmask_b32_e64 v6, 0, 1, s0
	v_cmp_gt_i32_e64 s0, 1, v14
	v_and_or_b32 v9, 0x1ff, v10, v9
	v_bfe_u32 v21, v10, 20, 11
	v_lshl_or_b32 v6, v6, 9, 0x7c00
	v_cndmask_b32_e64 v0, v19, v16, s0
	v_cmp_gt_i32_e64 s0, 31, v17
	v_lshrrev_b32_e32 v19, 8, v10
	v_and_b32_e32 v16, 7, v0
	v_cndmask_b32_e64 v15, 0x7c00, v15, s0
	v_cmp_ne_u32_e64 s0, 0, v9
	v_lshrrev_b32_e32 v0, 2, v0
	v_cmp_eq_u32_e64 s1, 3, v16
	v_cndmask_b32_e64 v9, 0, 1, s0
	v_cmp_eq_u32_e64 s0, 0x40f, v17
	v_mul_f64 v[12:13], v[12:13], s[4:5]
	v_and_or_b32 v9, 0xffe, v19, v9
	v_cndmask_b32_e64 v15, v15, v6, s0
	v_cmp_lt_i32_e64 s0, 5, v16
	v_sub_nc_u32_e32 v6, 0x3f1, v21
	s_waitcnt lgkmcnt(0)
	v_lshrrev_b32_e32 v16, 16, v3
	v_or_b32_e32 v17, 0x1000, v9
	v_and_or_b32 v11, 0x8000, v11, v15
	s_or_b32 s0, s1, s0
	v_med3_i32 v6, v6, 0, 13
	v_add_co_ci_u32_e64 v0, s0, 0, v0, s0
	v_cmp_ne_u32_e64 s0, 0, v20
	v_mul_f16_sdwa v19, v117, v16 dst_sel:DWORD dst_unused:UNUSED_PAD src0_sel:WORD_1 src1_sel:DWORD
	v_lshrrev_b32_e32 v22, v6, v17
	v_and_b32_e32 v11, 0xffff, v11
	v_cndmask_b32_e64 v20, 0, 1, s0
	v_cmp_gt_i32_e64 s0, 31, v14
	v_fmac_f16_e32 v19, v117, v3
	v_lshlrev_b32_e32 v23, v6, v22
	v_and_or_b32 v12, 0x1ff, v13, v12
	v_lshl_or_b32 v20, v20, 9, 0x7c00
	v_cndmask_b32_e64 v0, 0x7c00, v0, s0
	v_cmp_eq_u32_e64 s0, 0x40f, v14
	v_cvt_f32_f16_e32 v19, v19
	v_lshrrev_b32_e32 v14, 16, v5
	v_mul_f16_sdwa v3, v117, v3 dst_sel:DWORD dst_unused:UNUSED_PAD src0_sel:WORD_1 src1_sel:DWORD
	v_cndmask_b32_e64 v0, v0, v20, s0
	v_cmp_ne_u32_e64 s0, v23, v17
	v_cvt_f64_f32_e32 v[5:6], v19
	v_add_nc_u32_e32 v19, 0xfffffc10, v21
	v_bfe_u32 v20, v13, 20, 11
	v_and_or_b32 v0, 0x8000, v14, v0
	v_cndmask_b32_e64 v17, 0, 1, s0
	v_cmp_ne_u32_e64 s0, 0, v12
	v_lshl_or_b32 v15, v19, 12, v9
	v_fma_f16 v3, v117, v16, -v3
	v_lshl_or_b32 v0, v0, 16, v11
	v_or_b32_e32 v14, v22, v17
	v_cndmask_b32_e64 v12, 0, 1, s0
	v_lshrrev_b32_e32 v17, 8, v13
	v_cmp_gt_i32_e64 s0, 1, v19
	v_cvt_f32_f16_e32 v3, v3
	v_add_nc_u32_e32 v16, 0xfffffc10, v20
	v_lshrrev_b32_e32 v13, 16, v13
	v_cndmask_b32_e64 v14, v15, v14, s0
	v_and_or_b32 v15, 0xffe, v17, v12
	v_sub_nc_u32_e32 v12, 0x3f1, v20
	v_add_co_u32 v7, s0, v7, s8
	v_and_b32_e32 v11, 7, v14
	v_or_b32_e32 v17, 0x1000, v15
	v_med3_i32 v12, v12, 0, 13
	v_add_co_ci_u32_e64 v8, s0, s9, v8, s0
	v_cmp_lt_i32_e64 s0, 5, v11
	v_cmp_eq_u32_e64 s1, 3, v11
	v_lshrrev_b32_e32 v18, v12, v17
	v_mul_f64 v[5:6], v[5:6], s[4:5]
	global_store_dword v[7:8], v0, off
	v_lshrrev_b32_e32 v0, 2, v14
	s_or_b32 s0, s1, s0
	v_lshlrev_b32_e32 v11, v12, v18
	v_lshrrev_b32_e32 v20, 16, v2
	v_add_co_ci_u32_e64 v0, s0, 0, v0, s0
	v_cmp_ne_u32_e64 s0, v11, v17
	v_cvt_f64_f32_e32 v[11:12], v3
	v_cndmask_b32_e64 v14, 0, 1, s0
	v_cmp_ne_u32_e64 s0, 0, v9
	v_or_b32_e32 v3, v18, v14
	v_cndmask_b32_e64 v9, 0, 1, s0
	v_cmp_gt_i32_e64 s0, 31, v19
	v_lshl_or_b32 v14, v16, 12, v15
	v_and_or_b32 v5, 0x1ff, v6, v5
	v_bfe_u32 v17, v6, 20, 11
	v_lshl_or_b32 v9, v9, 9, 0x7c00
	v_cndmask_b32_e64 v0, 0x7c00, v0, s0
	v_cmp_gt_i32_e64 s0, 1, v16
	v_cndmask_b32_e64 v3, v14, v3, s0
	v_cmp_ne_u32_e64 s0, 0, v5
	v_lshrrev_b32_e32 v14, 8, v6
	v_lshrrev_b32_e32 v6, 16, v6
	v_and_b32_e32 v18, 7, v3
	v_cndmask_b32_e64 v5, 0, 1, s0
	v_cmp_eq_u32_e64 s0, 0x40f, v19
	v_sub_nc_u32_e32 v19, 0x3f1, v17
	v_lshrrev_b32_e32 v3, 2, v3
	v_cmp_eq_u32_e64 s1, 3, v18
	v_and_or_b32 v5, 0xffe, v14, v5
	v_cndmask_b32_e64 v0, v0, v9, s0
	v_cmp_lt_i32_e64 s0, 5, v18
	v_lshrrev_b32_e32 v14, 16, v10
	v_mul_f64 v[9:10], v[11:12], s[4:5]
	v_or_b32_e32 v21, 0x1000, v5
	v_med3_i32 v11, v19, 0, 13
	v_mul_f16_sdwa v12, v116, v20 dst_sel:DWORD dst_unused:UNUSED_PAD src0_sel:WORD_1 src1_sel:DWORD
	s_or_b32 s0, s1, s0
	v_and_or_b32 v0, 0x8000, v14, v0
	v_add_co_ci_u32_e64 v3, s0, 0, v3, s0
	v_lshrrev_b32_e32 v14, v11, v21
	v_cmp_ne_u32_e64 s0, 0, v15
	v_fmac_f16_e32 v12, v116, v2
	v_add_nc_u32_e32 v17, 0xfffffc10, v17
	v_and_b32_e32 v0, 0xffff, v0
	v_lshlrev_b32_e32 v18, v11, v14
	v_cndmask_b32_e64 v15, 0, 1, s0
	v_cmp_gt_i32_e64 s0, 31, v16
	v_cvt_f32_f16_e32 v12, v12
	v_mul_f16_sdwa v2, v116, v2 dst_sel:DWORD dst_unused:UNUSED_PAD src0_sel:WORD_1 src1_sel:DWORD
	v_lshl_or_b32 v15, v15, 9, 0x7c00
	v_cndmask_b32_e64 v3, 0x7c00, v3, s0
	v_cmp_ne_u32_e64 s0, v18, v21
	v_cvt_f64_f32_e32 v[11:12], v12
	v_and_or_b32 v9, 0x1ff, v10, v9
	v_cndmask_b32_e64 v18, 0, 1, s0
	v_cmp_eq_u32_e64 s0, 0x40f, v16
	v_lshrrev_b32_e32 v16, 8, v10
	v_or_b32_e32 v14, v14, v18
	v_cndmask_b32_e64 v3, v3, v15, s0
	v_cmp_ne_u32_e64 s0, 0, v9
	v_bfe_u32 v18, v10, 20, 11
	v_lshl_or_b32 v15, v17, 12, v5
	v_lshrrev_b32_e32 v10, 16, v10
	v_and_or_b32 v3, 0x8000, v13, v3
	v_cndmask_b32_e64 v9, 0, 1, s0
	v_cmp_gt_i32_e64 s0, 1, v17
	v_sub_nc_u32_e32 v13, 0x3f1, v18
	v_lshl_or_b32 v19, v3, 16, v0
	v_and_or_b32 v9, 0xffe, v16, v9
	v_cndmask_b32_e64 v14, v15, v14, s0
	v_mul_f64 v[11:12], v[11:12], s[4:5]
	v_med3_i32 v13, v13, 0, 13
	v_or_b32_e32 v16, 0x1000, v9
	v_and_b32_e32 v15, 7, v14
	v_lshrrev_b32_e32 v0, v13, v16
	v_cmp_lt_i32_e64 s0, 5, v15
	v_cmp_eq_u32_e64 s1, 3, v15
	v_fma_f16 v15, v116, v20, -v2
	v_add_co_u32 v2, s2, v7, s6
	v_lshrrev_b32_e32 v7, 2, v14
	v_add_co_ci_u32_e64 v3, s2, s7, v8, s2
	v_lshlrev_b32_e32 v8, v13, v0
	s_or_b32 s0, s1, s0
	v_cvt_f32_f16_e32 v13, v15
	v_add_co_ci_u32_e64 v14, s0, 0, v7, s0
	v_cmp_ne_u32_e64 s0, v8, v16
	v_and_or_b32 v11, 0x1ff, v12, v11
	v_cvt_f64_f32_e32 v[7:8], v13
	v_add_nc_u32_e32 v13, 0xfffffc10, v18
	v_lshrrev_b32_e32 v16, 8, v12
	v_cndmask_b32_e64 v15, 0, 1, s0
	v_cmp_gt_i32_e64 s0, 31, v17
	v_bfe_u32 v18, v12, 20, 11
	v_lshrrev_b32_e32 v12, 16, v12
	v_or_b32_e32 v0, v0, v15
	v_cndmask_b32_e64 v14, 0x7c00, v14, s0
	v_cmp_ne_u32_e64 s0, 0, v11
	v_lshl_or_b32 v15, v13, 12, v9
	v_cndmask_b32_e64 v11, 0, 1, s0
	v_cmp_ne_u32_e64 s0, 0, v5
	v_and_or_b32 v11, 0xffe, v16, v11
	v_cndmask_b32_e64 v5, 0, 1, s0
	v_cmp_gt_i32_e64 s0, 1, v13
	v_lshrrev_b32_e32 v16, 16, v1
	v_mul_f64 v[7:8], v[7:8], s[4:5]
	v_or_b32_e32 v21, 0x1000, v11
	v_lshl_or_b32 v5, v5, 9, 0x7c00
	v_cndmask_b32_e64 v0, v15, v0, s0
	v_sub_nc_u32_e32 v15, 0x3f1, v18
	v_cmp_eq_u32_e64 s0, 0x40f, v17
	v_mul_f16_sdwa v22, v115, v16 dst_sel:DWORD dst_unused:UNUSED_PAD src0_sel:WORD_1 src1_sel:DWORD
	v_add_nc_u32_e32 v18, 0xfffffc10, v18
	v_and_b32_e32 v20, 7, v0
	v_med3_i32 v15, v15, 0, 13
	v_cndmask_b32_e64 v5, v14, v5, s0
	v_lshrrev_b32_e32 v0, 2, v0
	v_fmac_f16_e32 v22, v115, v1
	v_cmp_lt_i32_e64 s0, 5, v20
	v_lshrrev_b32_e32 v14, v15, v21
	v_cmp_eq_u32_e64 s1, 3, v20
	v_and_or_b32 v17, 0x8000, v6, v5
	v_cvt_f32_f16_e32 v6, v22
	v_mul_f16_sdwa v1, v115, v1 dst_sel:DWORD dst_unused:UNUSED_PAD src0_sel:WORD_1 src1_sel:DWORD
	v_lshlrev_b32_e32 v5, v15, v14
	s_or_b32 s0, s1, s0
	v_add_co_ci_u32_e64 v0, s0, 0, v0, s0
	v_cmp_ne_u32_e64 s0, v5, v21
	v_cvt_f64_f32_e32 v[5:6], v6
	v_and_or_b32 v7, 0x1ff, v8, v7
	v_bfe_u32 v20, v8, 20, 11
	v_fma_f16 v1, v115, v16, -v1
	v_cndmask_b32_e64 v15, 0, 1, s0
	v_cmp_ne_u32_e64 s0, 0, v9
	v_or_b32_e32 v14, v14, v15
	v_cndmask_b32_e64 v9, 0, 1, s0
	v_cmp_gt_i32_e64 s0, 31, v13
	v_lshl_or_b32 v15, v18, 12, v11
	v_lshl_or_b32 v9, v9, 9, 0x7c00
	v_cndmask_b32_e64 v0, 0x7c00, v0, s0
	v_cmp_gt_i32_e64 s0, 1, v18
	v_cndmask_b32_e64 v14, v15, v14, s0
	v_cmp_ne_u32_e64 s0, 0, v7
	v_lshrrev_b32_e32 v15, 8, v8
	v_mul_f64 v[5:6], v[5:6], s[4:5]
	v_and_b32_e32 v21, 7, v14
	v_cndmask_b32_e64 v7, 0, 1, s0
	v_cmp_eq_u32_e64 s0, 0x40f, v13
	v_cmp_eq_u32_e64 s1, 3, v21
	v_and_or_b32 v7, 0xffe, v15, v7
	v_cndmask_b32_e64 v0, v0, v9, s0
	v_sub_nc_u32_e32 v9, 0x3f1, v20
	v_cmp_lt_i32_e64 s0, 5, v21
	v_or_b32_e32 v13, 0x1000, v7
	v_and_or_b32 v0, 0x8000, v10, v0
	v_lshrrev_b32_e32 v10, 2, v14
	v_med3_i32 v9, v9, 0, 13
	s_or_b32 s0, s1, s0
	v_and_b32_e32 v14, 0xffff, v17
	v_add_co_ci_u32_e64 v10, s0, 0, v10, s0
	v_lshrrev_b32_e32 v15, v9, v13
	v_cmp_ne_u32_e64 s0, 0, v11
	v_lshl_or_b32 v14, v0, 16, v14
	v_and_or_b32 v5, 0x1ff, v6, v5
	v_bfe_u32 v16, v6, 20, 11
	v_lshlrev_b32_e32 v0, v9, v15
	v_cndmask_b32_e64 v11, 0, 1, s0
	v_cmp_gt_i32_e64 s0, 31, v18
	v_cndmask_b32_e64 v9, 0x7c00, v10, s0
	v_cmp_ne_u32_e64 s0, v0, v13
	v_lshl_or_b32 v10, v11, 9, 0x7c00
	v_add_nc_u32_e32 v13, 0xfffffc10, v20
	v_cndmask_b32_e64 v0, 0, 1, s0
	v_cmp_eq_u32_e64 s0, 0x40f, v18
	v_lshrrev_b32_e32 v18, 16, v4
	v_cndmask_b32_e64 v11, v9, v10, s0
	v_cmp_ne_u32_e64 s0, 0, v5
	v_or_b32_e32 v9, v15, v0
	v_cvt_f32_f16_e32 v0, v1
	v_lshrrev_b32_e32 v15, 8, v6
	v_lshl_or_b32 v10, v13, 12, v7
	v_cndmask_b32_e64 v5, 0, 1, s0
	v_cmp_gt_i32_e64 s0, 1, v13
	v_cvt_f64_f32_e32 v[0:1], v0
	v_mul_f16_sdwa v22, v114, v18 dst_sel:DWORD dst_unused:UNUSED_PAD src0_sel:WORD_1 src1_sel:DWORD
	v_and_or_b32 v23, 0x8000, v12, v11
	v_and_or_b32 v15, 0xffe, v15, v5
	v_sub_nc_u32_e32 v5, 0x3f1, v16
	v_cndmask_b32_e64 v17, v10, v9, s0
	v_add_co_u32 v9, s0, v2, s6
	v_or_b32_e32 v21, 0x1000, v15
	v_med3_i32 v5, v5, 0, 13
	v_and_b32_e32 v20, 7, v17
	v_add_co_ci_u32_e64 v10, s0, s7, v3, s0
	v_fmac_f16_e32 v22, v114, v4
	v_lshrrev_b32_e32 v24, v5, v21
	v_cmp_lt_i32_e64 s0, 5, v20
	v_cmp_eq_u32_e64 s1, 3, v20
	v_lshrrev_b32_e32 v11, 2, v17
	v_cvt_f32_f16_e32 v12, v22
	v_lshlrev_b32_e32 v5, v5, v24
	v_add_nc_u32_e32 v16, 0xfffffc10, v16
	s_or_b32 s0, s1, s0
	v_mul_f64 v[0:1], v[0:1], s[4:5]
	v_add_co_ci_u32_e64 v17, s0, 0, v11, s0
	v_cmp_ne_u32_e64 s0, v5, v21
	v_cvt_f64_f32_e32 v[11:12], v12
	v_mul_f16_sdwa v4, v114, v4 dst_sel:DWORD dst_unused:UNUSED_PAD src0_sel:WORD_1 src1_sel:DWORD
	v_lshl_or_b32 v20, v16, 12, v15
	v_lshrrev_b32_e32 v6, 16, v6
	v_cndmask_b32_e64 v5, 0, 1, s0
	v_cmp_ne_u32_e64 s0, 0, v7
	v_fma_f16 v4, v114, v18, -v4
	v_or_b32_e32 v5, v24, v5
	v_cndmask_b32_e64 v7, 0, 1, s0
	v_cmp_gt_i32_e64 s0, 31, v13
	v_cvt_f32_f16_e32 v4, v4
	v_lshl_or_b32 v7, v7, 9, 0x7c00
	v_cndmask_b32_e64 v17, 0x7c00, v17, s0
	v_cmp_gt_i32_e64 s0, 1, v16
	v_and_or_b32 v0, 0x1ff, v1, v0
	v_cndmask_b32_e64 v18, v20, v5, s0
	v_cmp_eq_u32_e64 s0, 0x40f, v13
	v_cvt_f64_f32_e32 v[4:5], v4
	v_and_b32_e32 v20, 7, v18
	v_cndmask_b32_e64 v13, v17, v7, s0
	v_lshrrev_b32_e32 v17, 16, v8
	v_mul_f64 v[7:8], v[11:12], s[4:5]
	v_cmp_ne_u32_e64 s0, 0, v0
	v_lshrrev_b32_e32 v11, 8, v1
	v_bfe_u32 v12, v1, 20, 11
	v_and_or_b32 v13, 0x8000, v17, v13
	v_and_b32_e32 v17, 0xffff, v23
	v_cndmask_b32_e64 v0, 0, 1, s0
	v_cmp_lt_i32_e64 s0, 5, v20
	v_cmp_eq_u32_e64 s1, 3, v20
	v_lshrrev_b32_e32 v1, 16, v1
	v_lshl_or_b32 v13, v13, 16, v17
	v_lshrrev_b32_e32 v17, 2, v18
	v_and_or_b32 v0, 0xffe, v11, v0
	v_sub_nc_u32_e32 v11, 0x3f1, v12
	s_or_b32 s0, s1, s0
	v_add_nc_u32_e32 v12, 0xfffffc10, v12
	v_add_co_ci_u32_e64 v17, s0, 0, v17, s0
	v_or_b32_e32 v18, 0x1000, v0
	v_med3_i32 v11, v11, 0, 13
	v_cmp_ne_u32_e64 s0, 0, v15
	v_mul_f64 v[4:5], v[4:5], s[4:5]
	v_and_or_b32 v7, 0x1ff, v8, v7
	v_lshrrev_b32_e32 v21, 8, v8
	v_lshrrev_b32_e32 v20, v11, v18
	v_cndmask_b32_e64 v15, 0, 1, s0
	v_cmp_gt_i32_e64 s0, 31, v16
	v_bfe_u32 v22, v8, 20, 11
	v_lshrrev_b32_e32 v8, 16, v8
	v_lshlrev_b32_e32 v11, v11, v20
	v_lshl_or_b32 v15, v15, 9, 0x7c00
	v_cndmask_b32_e64 v17, 0x7c00, v17, s0
	v_cmp_ne_u32_e64 s0, 0, v7
	v_cndmask_b32_e64 v7, 0, 1, s0
	v_cmp_ne_u32_e64 s0, v11, v18
	v_sub_nc_u32_e32 v18, 0x3f1, v22
	v_and_or_b32 v7, 0xffe, v21, v7
	v_cndmask_b32_e64 v11, 0, 1, s0
	v_cmp_eq_u32_e64 s0, 0x40f, v16
	v_lshl_or_b32 v16, v12, 12, v0
	v_med3_i32 v18, v18, 0, 13
	v_and_or_b32 v4, 0x1ff, v5, v4
	v_or_b32_e32 v11, v20, v11
	v_cndmask_b32_e64 v15, v17, v15, s0
	v_or_b32_e32 v17, 0x1000, v7
	v_cmp_gt_i32_e64 s0, 1, v12
	v_lshrrev_b32_e32 v20, 8, v5
	v_bfe_u32 v21, v5, 20, 11
	v_and_or_b32 v6, 0x8000, v6, v15
	v_cndmask_b32_e64 v11, v16, v11, s0
	v_lshrrev_b32_e32 v16, v18, v17
	v_cmp_ne_u32_e64 s0, 0, v4
	v_sub_nc_u32_e32 v15, 0x3f1, v21
	v_and_b32_e32 v23, 7, v11
	v_lshlrev_b32_e32 v18, v18, v16
	v_cndmask_b32_e64 v4, 0, 1, s0
	v_lshrrev_b32_e32 v11, 2, v11
	v_med3_i32 v15, v15, 0, 13
	v_cmp_lt_i32_e64 s0, 5, v23
	v_cmp_ne_u32_e64 s1, v18, v17
	v_and_or_b32 v4, 0xffe, v20, v4
	v_add_nc_u32_e32 v20, 0xfffffc10, v22
	v_cndmask_b32_e64 v17, 0, 1, s1
	v_cmp_eq_u32_e64 s1, 3, v23
	v_or_b32_e32 v18, 0x1000, v4
	v_lshl_or_b32 v22, v20, 12, v7
	v_or_b32_e32 v16, v16, v17
	s_or_b32 s0, s1, s0
	v_lshrrev_b32_e32 v17, v15, v18
	v_add_co_ci_u32_e64 v11, s0, 0, v11, s0
	v_cmp_gt_i32_e64 s0, 1, v20
	v_lshlrev_b32_e32 v15, v15, v17
	v_cndmask_b32_e64 v16, v22, v16, s0
	v_cmp_ne_u32_e64 s0, 0, v0
	v_cndmask_b32_e64 v0, 0, 1, s0
	v_cmp_ne_u32_e64 s0, v15, v18
	v_add_nc_u32_e32 v18, 0xfffffc10, v21
	v_and_b32_e32 v21, 7, v16
	v_lshl_or_b32 v0, v0, 9, 0x7c00
	v_cndmask_b32_e64 v15, 0, 1, s0
	v_cmp_gt_i32_e64 s0, 31, v12
	v_cmp_gt_i32_e64 s2, 1, v18
	v_cmp_eq_u32_e64 s1, 3, v21
	v_or_b32_e32 v15, v17, v15
	v_lshl_or_b32 v17, v18, 12, v4
	v_cndmask_b32_e64 v11, 0x7c00, v11, s0
	v_cmp_lt_i32_e64 s0, 5, v21
	v_cndmask_b32_e64 v15, v17, v15, s2
	v_cmp_eq_u32_e64 s2, 0x40f, v12
	s_or_b32 s0, s1, s0
	v_and_b32_e32 v12, 7, v15
	v_cndmask_b32_e64 v0, v11, v0, s2
	v_lshrrev_b32_e32 v11, 2, v16
	v_cmp_gt_i32_e64 s2, 31, v20
	v_cmp_eq_u32_e64 s1, 3, v12
	v_and_or_b32 v0, 0x8000, v1, v0
	v_add_co_ci_u32_e64 v11, s0, 0, v11, s0
	v_cmp_ne_u32_e64 s0, 0, v7
	v_and_b32_e32 v1, 0xffff, v6
	v_cndmask_b32_e64 v11, 0x7c00, v11, s2
	v_cndmask_b32_e64 v7, 0, 1, s0
	v_cmp_lt_i32_e64 s0, 5, v12
	v_lshrrev_b32_e32 v12, 2, v15
	v_lshl_or_b32 v7, v7, 9, 0x7c00
	s_or_b32 s0, s1, s0
	v_add_co_ci_u32_e64 v12, s0, 0, v12, s0
	v_cmp_ne_u32_e64 s0, 0, v4
	v_cndmask_b32_e64 v4, 0, 1, s0
	v_cmp_eq_u32_e64 s0, 0x40f, v20
	v_lshl_or_b32 v4, v4, 9, 0x7c00
	v_cndmask_b32_e64 v7, v11, v7, s0
	v_cmp_gt_i32_e64 s0, 31, v18
	v_and_or_b32 v6, 0x8000, v8, v7
	v_cndmask_b32_e64 v11, 0x7c00, v12, s0
	v_cmp_eq_u32_e64 s0, 0x40f, v18
	v_lshrrev_b32_e32 v8, 16, v5
	v_cndmask_b32_e64 v7, v11, v4, s0
	v_add_co_u32 v4, s0, v9, s8
	v_add_co_ci_u32_e64 v5, s0, s9, v10, s0
	v_lshl_or_b32 v11, v0, 16, v1
	v_and_or_b32 v0, 0x8000, v8, v7
	v_and_b32_e32 v1, 0xffff, v6
	v_add_co_u32 v6, s0, v4, s6
	v_add_co_ci_u32_e64 v7, s0, s7, v5, s0
	v_lshl_or_b32 v8, v0, 16, v1
	v_add_co_u32 v0, s0, v6, s6
	v_add_co_ci_u32_e64 v1, s0, s7, v7, s0
	global_store_dword v[2:3], v19, off
	global_store_dword v[9:10], v14, off
	;; [unrolled: 1-line block ×5, first 2 shown]
	s_and_b32 exec_lo, exec_lo, vcc_lo
	s_cbranch_execz .LBB0_31
; %bb.30:
	global_load_dword v2, v[58:59], off offset:2016
	ds_read_b32 v3, v113 offset:2016
	ds_read_b32 v6, v113 offset:4116
	ds_read_b32 v7, v113 offset:6216
	s_waitcnt lgkmcnt(2)
	v_lshrrev_b32_e32 v4, 16, v3
	s_waitcnt vmcnt(0)
	v_mul_f16_sdwa v5, v4, v2 dst_sel:DWORD dst_unused:UNUSED_PAD src0_sel:DWORD src1_sel:WORD_1
	v_mul_f16_sdwa v8, v3, v2 dst_sel:DWORD dst_unused:UNUSED_PAD src0_sel:DWORD src1_sel:WORD_1
	v_fmac_f16_e32 v5, v3, v2
	v_fma_f16 v2, v2, v4, -v8
	v_cvt_f32_f16_e32 v3, v5
	v_cvt_f32_f16_e32 v4, v2
	v_cvt_f64_f32_e32 v[2:3], v3
	v_cvt_f64_f32_e32 v[4:5], v4
	v_mul_f64 v[2:3], v[2:3], s[4:5]
	v_mul_f64 v[4:5], v[4:5], s[4:5]
	v_and_or_b32 v2, 0x1ff, v3, v2
	v_and_or_b32 v4, 0x1ff, v5, v4
	v_lshrrev_b32_e32 v8, 8, v3
	v_bfe_u32 v9, v3, 20, 11
	v_lshrrev_b32_e32 v10, 8, v5
	v_cmp_ne_u32_e32 vcc_lo, 0, v2
	v_bfe_u32 v11, v5, 20, 11
	v_lshrrev_b32_e32 v3, 16, v3
	v_sub_nc_u32_e32 v12, 0x3f1, v9
	v_add_nc_u32_e32 v9, 0xfffffc10, v9
	v_cndmask_b32_e64 v2, 0, 1, vcc_lo
	v_cmp_ne_u32_e32 vcc_lo, 0, v4
	v_lshrrev_b32_e32 v5, 16, v5
	v_and_or_b32 v2, 0xffe, v8, v2
	v_cndmask_b32_e64 v4, 0, 1, vcc_lo
	v_sub_nc_u32_e32 v8, 0x3f1, v11
	v_add_nc_u32_e32 v11, 0xfffffc10, v11
	v_and_or_b32 v4, 0xffe, v10, v4
	v_med3_i32 v10, v12, 0, 13
	v_or_b32_e32 v12, 0x1000, v2
	v_med3_i32 v8, v8, 0, 13
	v_or_b32_e32 v13, 0x1000, v4
	v_lshrrev_b32_e32 v14, v10, v12
	v_lshrrev_b32_e32 v15, v8, v13
	v_lshlrev_b32_e32 v10, v10, v14
	v_lshlrev_b32_e32 v8, v8, v15
	v_cmp_ne_u32_e32 vcc_lo, v10, v12
	v_lshl_or_b32 v12, v9, 12, v2
	v_cndmask_b32_e64 v10, 0, 1, vcc_lo
	v_cmp_ne_u32_e32 vcc_lo, v8, v13
	v_lshl_or_b32 v13, v11, 12, v4
	v_or_b32_e32 v10, v14, v10
	v_cndmask_b32_e64 v8, 0, 1, vcc_lo
	v_cmp_gt_i32_e32 vcc_lo, 1, v9
	v_or_b32_e32 v8, v15, v8
	v_cndmask_b32_e32 v10, v12, v10, vcc_lo
	v_cmp_gt_i32_e32 vcc_lo, 1, v11
	v_and_b32_e32 v12, 7, v10
	v_cndmask_b32_e32 v8, v13, v8, vcc_lo
	v_cmp_ne_u32_e32 vcc_lo, 0, v2
	v_lshrrev_b32_e32 v10, 2, v10
	v_cmp_eq_u32_e64 s0, 3, v12
	v_and_b32_e32 v13, 7, v8
	v_cndmask_b32_e64 v2, 0, 1, vcc_lo
	v_cmp_ne_u32_e32 vcc_lo, 0, v4
	v_lshrrev_b32_e32 v8, 2, v8
	v_cmp_lt_i32_e64 s1, 5, v13
	v_cmp_eq_u32_e64 s2, 3, v13
	v_cndmask_b32_e64 v4, 0, 1, vcc_lo
	v_cmp_lt_i32_e32 vcc_lo, 5, v12
	v_lshl_or_b32 v2, v2, 9, 0x7c00
	v_lshl_or_b32 v4, v4, 9, 0x7c00
	s_or_b32 vcc_lo, s0, vcc_lo
	v_add_co_ci_u32_e32 v10, vcc_lo, 0, v10, vcc_lo
	s_or_b32 vcc_lo, s2, s1
	v_add_co_ci_u32_e32 v8, vcc_lo, 0, v8, vcc_lo
	v_cmp_gt_i32_e32 vcc_lo, 31, v9
	v_cndmask_b32_e32 v10, 0x7c00, v10, vcc_lo
	v_cmp_gt_i32_e32 vcc_lo, 31, v11
	v_cndmask_b32_e32 v8, 0x7c00, v8, vcc_lo
	v_cmp_eq_u32_e32 vcc_lo, 0x40f, v9
	v_cndmask_b32_e32 v2, v10, v2, vcc_lo
	v_cmp_eq_u32_e32 vcc_lo, 0x40f, v11
	v_and_or_b32 v2, 0x8000, v3, v2
	v_cndmask_b32_e32 v4, v8, v4, vcc_lo
	v_add_co_u32 v0, vcc_lo, v0, s8
	v_add_co_ci_u32_e32 v1, vcc_lo, s9, v1, vcc_lo
	v_and_or_b32 v3, 0x8000, v5, v4
	v_and_b32_e32 v2, 0xffff, v2
	v_lshl_or_b32 v2, v3, 16, v2
	s_waitcnt lgkmcnt(1)
	v_lshrrev_b32_e32 v3, 16, v6
	global_store_dword v[0:1], v2, off
	global_load_dword v2, v[56:57], off offset:20
	s_waitcnt vmcnt(0)
	v_mul_f16_sdwa v4, v3, v2 dst_sel:DWORD dst_unused:UNUSED_PAD src0_sel:DWORD src1_sel:WORD_1
	v_mul_f16_sdwa v5, v6, v2 dst_sel:DWORD dst_unused:UNUSED_PAD src0_sel:DWORD src1_sel:WORD_1
	v_fmac_f16_e32 v4, v6, v2
	v_fma_f16 v2, v2, v3, -v5
	v_cvt_f32_f16_e32 v3, v4
	v_cvt_f32_f16_e32 v4, v2
	v_cvt_f64_f32_e32 v[2:3], v3
	v_cvt_f64_f32_e32 v[4:5], v4
	v_mul_f64 v[2:3], v[2:3], s[4:5]
	v_mul_f64 v[4:5], v[4:5], s[4:5]
	v_and_or_b32 v2, 0x1ff, v3, v2
	v_and_or_b32 v4, 0x1ff, v5, v4
	v_lshrrev_b32_e32 v6, 8, v3
	v_bfe_u32 v8, v3, 20, 11
	v_lshrrev_b32_e32 v9, 8, v5
	v_cmp_ne_u32_e32 vcc_lo, 0, v2
	v_bfe_u32 v10, v5, 20, 11
	v_lshrrev_b32_e32 v3, 16, v3
	v_sub_nc_u32_e32 v11, 0x3f1, v8
	v_add_nc_u32_e32 v8, 0xfffffc10, v8
	v_cndmask_b32_e64 v2, 0, 1, vcc_lo
	v_cmp_ne_u32_e32 vcc_lo, 0, v4
	v_lshrrev_b32_e32 v5, 16, v5
	v_and_or_b32 v2, 0xffe, v6, v2
	v_cndmask_b32_e64 v4, 0, 1, vcc_lo
	v_sub_nc_u32_e32 v6, 0x3f1, v10
	v_add_nc_u32_e32 v10, 0xfffffc10, v10
	v_and_or_b32 v4, 0xffe, v9, v4
	v_med3_i32 v9, v11, 0, 13
	v_or_b32_e32 v11, 0x1000, v2
	v_med3_i32 v6, v6, 0, 13
	v_or_b32_e32 v12, 0x1000, v4
	v_lshrrev_b32_e32 v13, v9, v11
	v_lshrrev_b32_e32 v14, v6, v12
	v_lshlrev_b32_e32 v9, v9, v13
	v_lshlrev_b32_e32 v6, v6, v14
	v_cmp_ne_u32_e32 vcc_lo, v9, v11
	v_lshl_or_b32 v11, v8, 12, v2
	v_cndmask_b32_e64 v9, 0, 1, vcc_lo
	v_cmp_ne_u32_e32 vcc_lo, v6, v12
	v_lshl_or_b32 v12, v10, 12, v4
	v_or_b32_e32 v9, v13, v9
	v_cndmask_b32_e64 v6, 0, 1, vcc_lo
	v_cmp_gt_i32_e32 vcc_lo, 1, v8
	v_or_b32_e32 v6, v14, v6
	v_cndmask_b32_e32 v9, v11, v9, vcc_lo
	v_cmp_gt_i32_e32 vcc_lo, 1, v10
	v_and_b32_e32 v11, 7, v9
	v_cndmask_b32_e32 v6, v12, v6, vcc_lo
	v_cmp_ne_u32_e32 vcc_lo, 0, v2
	v_lshrrev_b32_e32 v9, 2, v9
	v_cmp_eq_u32_e64 s0, 3, v11
	v_and_b32_e32 v12, 7, v6
	v_cndmask_b32_e64 v2, 0, 1, vcc_lo
	v_cmp_ne_u32_e32 vcc_lo, 0, v4
	v_lshrrev_b32_e32 v6, 2, v6
	v_cmp_lt_i32_e64 s1, 5, v12
	v_cmp_eq_u32_e64 s2, 3, v12
	v_cndmask_b32_e64 v4, 0, 1, vcc_lo
	v_cmp_lt_i32_e32 vcc_lo, 5, v11
	v_lshl_or_b32 v2, v2, 9, 0x7c00
	v_lshl_or_b32 v4, v4, 9, 0x7c00
	s_or_b32 vcc_lo, s0, vcc_lo
	v_add_co_ci_u32_e32 v9, vcc_lo, 0, v9, vcc_lo
	s_or_b32 vcc_lo, s2, s1
	v_add_co_ci_u32_e32 v6, vcc_lo, 0, v6, vcc_lo
	v_cmp_gt_i32_e32 vcc_lo, 31, v8
	v_cndmask_b32_e32 v9, 0x7c00, v9, vcc_lo
	v_cmp_gt_i32_e32 vcc_lo, 31, v10
	v_cndmask_b32_e32 v6, 0x7c00, v6, vcc_lo
	v_cmp_eq_u32_e32 vcc_lo, 0x40f, v8
	v_cndmask_b32_e32 v2, v9, v2, vcc_lo
	v_cmp_eq_u32_e32 vcc_lo, 0x40f, v10
	v_and_or_b32 v2, 0x8000, v3, v2
	v_cndmask_b32_e32 v4, v6, v4, vcc_lo
	v_add_co_u32 v0, vcc_lo, v0, s6
	v_add_co_ci_u32_e32 v1, vcc_lo, s7, v1, vcc_lo
	v_and_or_b32 v3, 0x8000, v5, v4
	v_and_b32_e32 v2, 0xffff, v2
	v_lshl_or_b32 v2, v3, 16, v2
	s_waitcnt lgkmcnt(0)
	v_lshrrev_b32_e32 v3, 16, v7
	global_store_dword v[0:1], v2, off
	global_load_dword v2, v[61:62], off offset:72
	s_waitcnt vmcnt(0)
	v_mul_f16_sdwa v4, v3, v2 dst_sel:DWORD dst_unused:UNUSED_PAD src0_sel:DWORD src1_sel:WORD_1
	v_mul_f16_sdwa v5, v7, v2 dst_sel:DWORD dst_unused:UNUSED_PAD src0_sel:DWORD src1_sel:WORD_1
	v_fmac_f16_e32 v4, v7, v2
	v_fma_f16 v2, v2, v3, -v5
	v_cvt_f32_f16_e32 v3, v4
	v_cvt_f32_f16_e32 v4, v2
	v_cvt_f64_f32_e32 v[2:3], v3
	v_cvt_f64_f32_e32 v[4:5], v4
	v_mul_f64 v[2:3], v[2:3], s[4:5]
	v_mul_f64 v[4:5], v[4:5], s[4:5]
	v_and_or_b32 v2, 0x1ff, v3, v2
	v_and_or_b32 v4, 0x1ff, v5, v4
	v_lshrrev_b32_e32 v6, 8, v3
	v_bfe_u32 v7, v3, 20, 11
	v_lshrrev_b32_e32 v8, 8, v5
	v_cmp_ne_u32_e32 vcc_lo, 0, v2
	v_bfe_u32 v9, v5, 20, 11
	v_lshrrev_b32_e32 v3, 16, v3
	v_sub_nc_u32_e32 v10, 0x3f1, v7
	v_add_nc_u32_e32 v7, 0xfffffc10, v7
	v_cndmask_b32_e64 v2, 0, 1, vcc_lo
	v_cmp_ne_u32_e32 vcc_lo, 0, v4
	v_lshrrev_b32_e32 v5, 16, v5
	v_and_or_b32 v2, 0xffe, v6, v2
	v_cndmask_b32_e64 v4, 0, 1, vcc_lo
	v_sub_nc_u32_e32 v6, 0x3f1, v9
	v_add_nc_u32_e32 v9, 0xfffffc10, v9
	v_and_or_b32 v4, 0xffe, v8, v4
	v_med3_i32 v8, v10, 0, 13
	v_or_b32_e32 v10, 0x1000, v2
	v_med3_i32 v6, v6, 0, 13
	v_or_b32_e32 v11, 0x1000, v4
	v_lshrrev_b32_e32 v12, v8, v10
	v_lshrrev_b32_e32 v13, v6, v11
	v_lshlrev_b32_e32 v8, v8, v12
	v_lshlrev_b32_e32 v6, v6, v13
	v_cmp_ne_u32_e32 vcc_lo, v8, v10
	v_lshl_or_b32 v10, v7, 12, v2
	v_cndmask_b32_e64 v8, 0, 1, vcc_lo
	v_cmp_ne_u32_e32 vcc_lo, v6, v11
	v_lshl_or_b32 v11, v9, 12, v4
	v_or_b32_e32 v8, v12, v8
	v_cndmask_b32_e64 v6, 0, 1, vcc_lo
	v_cmp_gt_i32_e32 vcc_lo, 1, v7
	v_or_b32_e32 v6, v13, v6
	v_cndmask_b32_e32 v8, v10, v8, vcc_lo
	v_cmp_gt_i32_e32 vcc_lo, 1, v9
	v_and_b32_e32 v10, 7, v8
	v_cndmask_b32_e32 v6, v11, v6, vcc_lo
	v_cmp_ne_u32_e32 vcc_lo, 0, v2
	v_lshrrev_b32_e32 v8, 2, v8
	v_cmp_eq_u32_e64 s0, 3, v10
	v_and_b32_e32 v11, 7, v6
	v_cndmask_b32_e64 v2, 0, 1, vcc_lo
	v_cmp_ne_u32_e32 vcc_lo, 0, v4
	v_lshrrev_b32_e32 v6, 2, v6
	v_cmp_lt_i32_e64 s1, 5, v11
	v_cmp_eq_u32_e64 s2, 3, v11
	v_cndmask_b32_e64 v4, 0, 1, vcc_lo
	v_cmp_lt_i32_e32 vcc_lo, 5, v10
	v_lshl_or_b32 v2, v2, 9, 0x7c00
	v_lshl_or_b32 v4, v4, 9, 0x7c00
	s_or_b32 vcc_lo, s0, vcc_lo
	v_add_co_ci_u32_e32 v8, vcc_lo, 0, v8, vcc_lo
	s_or_b32 vcc_lo, s2, s1
	v_add_co_ci_u32_e32 v6, vcc_lo, 0, v6, vcc_lo
	v_cmp_gt_i32_e32 vcc_lo, 31, v7
	v_cndmask_b32_e32 v8, 0x7c00, v8, vcc_lo
	v_cmp_gt_i32_e32 vcc_lo, 31, v9
	v_cndmask_b32_e32 v6, 0x7c00, v6, vcc_lo
	v_cmp_eq_u32_e32 vcc_lo, 0x40f, v7
	v_cndmask_b32_e32 v2, v8, v2, vcc_lo
	v_cmp_eq_u32_e32 vcc_lo, 0x40f, v9
	v_and_or_b32 v2, 0x8000, v3, v2
	v_cndmask_b32_e32 v4, v6, v4, vcc_lo
	v_add_co_u32 v0, vcc_lo, v0, s6
	v_add_co_ci_u32_e32 v1, vcc_lo, s7, v1, vcc_lo
	v_and_or_b32 v3, 0x8000, v5, v4
	v_and_b32_e32 v2, 0xffff, v2
	v_lshl_or_b32 v2, v3, 16, v2
	global_store_dword v[0:1], v2, off
.LBB0_31:
	s_endpgm
	.section	.rodata,"a",@progbits
	.p2align	6, 0x0
	.amdhsa_kernel bluestein_single_back_len1575_dim1_half_op_CI_CI
		.amdhsa_group_segment_fixed_size 6300
		.amdhsa_private_segment_fixed_size 0
		.amdhsa_kernarg_size 104
		.amdhsa_user_sgpr_count 6
		.amdhsa_user_sgpr_private_segment_buffer 1
		.amdhsa_user_sgpr_dispatch_ptr 0
		.amdhsa_user_sgpr_queue_ptr 0
		.amdhsa_user_sgpr_kernarg_segment_ptr 1
		.amdhsa_user_sgpr_dispatch_id 0
		.amdhsa_user_sgpr_flat_scratch_init 0
		.amdhsa_user_sgpr_private_segment_size 0
		.amdhsa_wavefront_size32 1
		.amdhsa_uses_dynamic_stack 0
		.amdhsa_system_sgpr_private_segment_wavefront_offset 0
		.amdhsa_system_sgpr_workgroup_id_x 1
		.amdhsa_system_sgpr_workgroup_id_y 0
		.amdhsa_system_sgpr_workgroup_id_z 0
		.amdhsa_system_sgpr_workgroup_info 0
		.amdhsa_system_vgpr_workitem_id 0
		.amdhsa_next_free_vgpr 237
		.amdhsa_next_free_sgpr 16
		.amdhsa_reserve_vcc 1
		.amdhsa_reserve_flat_scratch 0
		.amdhsa_float_round_mode_32 0
		.amdhsa_float_round_mode_16_64 0
		.amdhsa_float_denorm_mode_32 3
		.amdhsa_float_denorm_mode_16_64 3
		.amdhsa_dx10_clamp 1
		.amdhsa_ieee_mode 1
		.amdhsa_fp16_overflow 0
		.amdhsa_workgroup_processor_mode 1
		.amdhsa_memory_ordered 1
		.amdhsa_forward_progress 0
		.amdhsa_shared_vgpr_count 0
		.amdhsa_exception_fp_ieee_invalid_op 0
		.amdhsa_exception_fp_denorm_src 0
		.amdhsa_exception_fp_ieee_div_zero 0
		.amdhsa_exception_fp_ieee_overflow 0
		.amdhsa_exception_fp_ieee_underflow 0
		.amdhsa_exception_fp_ieee_inexact 0
		.amdhsa_exception_int_div_zero 0
	.end_amdhsa_kernel
	.text
.Lfunc_end0:
	.size	bluestein_single_back_len1575_dim1_half_op_CI_CI, .Lfunc_end0-bluestein_single_back_len1575_dim1_half_op_CI_CI
                                        ; -- End function
	.section	.AMDGPU.csdata,"",@progbits
; Kernel info:
; codeLenInByte = 47260
; NumSgprs: 18
; NumVgprs: 237
; ScratchSize: 0
; MemoryBound: 0
; FloatMode: 240
; IeeeMode: 1
; LDSByteSize: 6300 bytes/workgroup (compile time only)
; SGPRBlocks: 2
; VGPRBlocks: 29
; NumSGPRsForWavesPerEU: 18
; NumVGPRsForWavesPerEU: 237
; Occupancy: 4
; WaveLimiterHint : 1
; COMPUTE_PGM_RSRC2:SCRATCH_EN: 0
; COMPUTE_PGM_RSRC2:USER_SGPR: 6
; COMPUTE_PGM_RSRC2:TRAP_HANDLER: 0
; COMPUTE_PGM_RSRC2:TGID_X_EN: 1
; COMPUTE_PGM_RSRC2:TGID_Y_EN: 0
; COMPUTE_PGM_RSRC2:TGID_Z_EN: 0
; COMPUTE_PGM_RSRC2:TIDIG_COMP_CNT: 0
	.text
	.p2alignl 6, 3214868480
	.fill 48, 4, 3214868480
	.type	__hip_cuid_c7178fc89b4e0857,@object ; @__hip_cuid_c7178fc89b4e0857
	.section	.bss,"aw",@nobits
	.globl	__hip_cuid_c7178fc89b4e0857
__hip_cuid_c7178fc89b4e0857:
	.byte	0                               ; 0x0
	.size	__hip_cuid_c7178fc89b4e0857, 1

	.ident	"AMD clang version 19.0.0git (https://github.com/RadeonOpenCompute/llvm-project roc-6.4.0 25133 c7fe45cf4b819c5991fe208aaa96edf142730f1d)"
	.section	".note.GNU-stack","",@progbits
	.addrsig
	.addrsig_sym __hip_cuid_c7178fc89b4e0857
	.amdgpu_metadata
---
amdhsa.kernels:
  - .args:
      - .actual_access:  read_only
        .address_space:  global
        .offset:         0
        .size:           8
        .value_kind:     global_buffer
      - .actual_access:  read_only
        .address_space:  global
        .offset:         8
        .size:           8
        .value_kind:     global_buffer
      - .actual_access:  read_only
        .address_space:  global
        .offset:         16
        .size:           8
        .value_kind:     global_buffer
      - .actual_access:  read_only
        .address_space:  global
        .offset:         24
        .size:           8
        .value_kind:     global_buffer
      - .actual_access:  read_only
        .address_space:  global
        .offset:         32
        .size:           8
        .value_kind:     global_buffer
      - .offset:         40
        .size:           8
        .value_kind:     by_value
      - .address_space:  global
        .offset:         48
        .size:           8
        .value_kind:     global_buffer
      - .address_space:  global
        .offset:         56
        .size:           8
        .value_kind:     global_buffer
      - .address_space:  global
        .offset:         64
        .size:           8
        .value_kind:     global_buffer
      - .address_space:  global
        .offset:         72
        .size:           8
        .value_kind:     global_buffer
      - .offset:         80
        .size:           4
        .value_kind:     by_value
      - .address_space:  global
        .offset:         88
        .size:           8
        .value_kind:     global_buffer
      - .address_space:  global
        .offset:         96
        .size:           8
        .value_kind:     global_buffer
    .group_segment_fixed_size: 6300
    .kernarg_segment_align: 8
    .kernarg_segment_size: 104
    .language:       OpenCL C
    .language_version:
      - 2
      - 0
    .max_flat_workgroup_size: 63
    .name:           bluestein_single_back_len1575_dim1_half_op_CI_CI
    .private_segment_fixed_size: 0
    .sgpr_count:     18
    .sgpr_spill_count: 0
    .symbol:         bluestein_single_back_len1575_dim1_half_op_CI_CI.kd
    .uniform_work_group_size: 1
    .uses_dynamic_stack: false
    .vgpr_count:     237
    .vgpr_spill_count: 0
    .wavefront_size: 32
    .workgroup_processor_mode: 1
amdhsa.target:   amdgcn-amd-amdhsa--gfx1030
amdhsa.version:
  - 1
  - 2
...

	.end_amdgpu_metadata
